;; amdgpu-corpus repo=ROCm/rocFFT kind=compiled arch=gfx1100 opt=O3
	.text
	.amdgcn_target "amdgcn-amd-amdhsa--gfx1100"
	.amdhsa_code_object_version 6
	.protected	fft_rtc_fwd_len1560_factors_13_2_2_10_3_wgs_156_tpt_156_sp_ip_CI_sbrr_dirReg ; -- Begin function fft_rtc_fwd_len1560_factors_13_2_2_10_3_wgs_156_tpt_156_sp_ip_CI_sbrr_dirReg
	.globl	fft_rtc_fwd_len1560_factors_13_2_2_10_3_wgs_156_tpt_156_sp_ip_CI_sbrr_dirReg
	.p2align	8
	.type	fft_rtc_fwd_len1560_factors_13_2_2_10_3_wgs_156_tpt_156_sp_ip_CI_sbrr_dirReg,@function
fft_rtc_fwd_len1560_factors_13_2_2_10_3_wgs_156_tpt_156_sp_ip_CI_sbrr_dirReg: ; @fft_rtc_fwd_len1560_factors_13_2_2_10_3_wgs_156_tpt_156_sp_ip_CI_sbrr_dirReg
; %bb.0:
	s_clause 0x2
	s_load_b64 s[12:13], s[0:1], 0x18
	s_load_b128 s[4:7], s[0:1], 0x0
	s_load_b64 s[10:11], s[0:1], 0x50
	v_mul_u32_u24_e32 v1, 0x1a5, v0
	v_mov_b32_e32 v3, 0
	v_mov_b32_e32 v4, 0
	s_delay_alu instid0(VALU_DEP_3) | instskip(SKIP_1) | instid1(VALU_DEP_1)
	v_lshrrev_b32_e32 v2, 16, v1
	v_mov_b32_e32 v1, 0
	v_dual_mov_b32 v6, v1 :: v_dual_add_nc_u32 v5, s15, v2
	s_waitcnt lgkmcnt(0)
	s_load_b64 s[8:9], s[12:13], 0x0
	v_cmp_lt_u64_e64 s2, s[6:7], 2
	s_delay_alu instid0(VALU_DEP_1)
	s_and_b32 vcc_lo, exec_lo, s2
	s_cbranch_vccnz .LBB0_8
; %bb.1:
	s_load_b64 s[2:3], s[0:1], 0x10
	v_mov_b32_e32 v3, 0
	s_add_u32 s14, s12, 8
	v_mov_b32_e32 v4, 0
	s_addc_u32 s15, s13, 0
	s_mov_b64 s[18:19], 1
	s_waitcnt lgkmcnt(0)
	s_add_u32 s16, s2, 8
	s_addc_u32 s17, s3, 0
.LBB0_2:                                ; =>This Inner Loop Header: Depth=1
	s_load_b64 s[20:21], s[16:17], 0x0
                                        ; implicit-def: $vgpr7_vgpr8
	s_mov_b32 s2, exec_lo
	s_waitcnt lgkmcnt(0)
	v_or_b32_e32 v2, s21, v6
	s_delay_alu instid0(VALU_DEP_1)
	v_cmpx_ne_u64_e32 0, v[1:2]
	s_xor_b32 s3, exec_lo, s2
	s_cbranch_execz .LBB0_4
; %bb.3:                                ;   in Loop: Header=BB0_2 Depth=1
	v_cvt_f32_u32_e32 v2, s20
	v_cvt_f32_u32_e32 v7, s21
	s_sub_u32 s2, 0, s20
	s_subb_u32 s22, 0, s21
	s_delay_alu instid0(VALU_DEP_1) | instskip(NEXT) | instid1(VALU_DEP_1)
	v_fmac_f32_e32 v2, 0x4f800000, v7
	v_rcp_f32_e32 v2, v2
	s_waitcnt_depctr 0xfff
	v_mul_f32_e32 v2, 0x5f7ffffc, v2
	s_delay_alu instid0(VALU_DEP_1) | instskip(NEXT) | instid1(VALU_DEP_1)
	v_mul_f32_e32 v7, 0x2f800000, v2
	v_trunc_f32_e32 v7, v7
	s_delay_alu instid0(VALU_DEP_1) | instskip(SKIP_1) | instid1(VALU_DEP_2)
	v_fmac_f32_e32 v2, 0xcf800000, v7
	v_cvt_u32_f32_e32 v7, v7
	v_cvt_u32_f32_e32 v2, v2
	s_delay_alu instid0(VALU_DEP_2) | instskip(NEXT) | instid1(VALU_DEP_2)
	v_mul_lo_u32 v8, s2, v7
	v_mul_hi_u32 v9, s2, v2
	v_mul_lo_u32 v10, s22, v2
	s_delay_alu instid0(VALU_DEP_2) | instskip(SKIP_1) | instid1(VALU_DEP_2)
	v_add_nc_u32_e32 v8, v9, v8
	v_mul_lo_u32 v9, s2, v2
	v_add_nc_u32_e32 v8, v8, v10
	s_delay_alu instid0(VALU_DEP_2) | instskip(NEXT) | instid1(VALU_DEP_2)
	v_mul_hi_u32 v10, v2, v9
	v_mul_lo_u32 v11, v2, v8
	v_mul_hi_u32 v12, v2, v8
	v_mul_hi_u32 v13, v7, v9
	v_mul_lo_u32 v9, v7, v9
	v_mul_hi_u32 v14, v7, v8
	v_mul_lo_u32 v8, v7, v8
	v_add_co_u32 v10, vcc_lo, v10, v11
	v_add_co_ci_u32_e32 v11, vcc_lo, 0, v12, vcc_lo
	s_delay_alu instid0(VALU_DEP_2) | instskip(NEXT) | instid1(VALU_DEP_2)
	v_add_co_u32 v9, vcc_lo, v10, v9
	v_add_co_ci_u32_e32 v9, vcc_lo, v11, v13, vcc_lo
	v_add_co_ci_u32_e32 v10, vcc_lo, 0, v14, vcc_lo
	s_delay_alu instid0(VALU_DEP_2) | instskip(NEXT) | instid1(VALU_DEP_2)
	v_add_co_u32 v8, vcc_lo, v9, v8
	v_add_co_ci_u32_e32 v9, vcc_lo, 0, v10, vcc_lo
	s_delay_alu instid0(VALU_DEP_2) | instskip(NEXT) | instid1(VALU_DEP_2)
	v_add_co_u32 v2, vcc_lo, v2, v8
	v_add_co_ci_u32_e32 v7, vcc_lo, v7, v9, vcc_lo
	s_delay_alu instid0(VALU_DEP_2) | instskip(SKIP_1) | instid1(VALU_DEP_3)
	v_mul_hi_u32 v8, s2, v2
	v_mul_lo_u32 v10, s22, v2
	v_mul_lo_u32 v9, s2, v7
	s_delay_alu instid0(VALU_DEP_1) | instskip(SKIP_1) | instid1(VALU_DEP_2)
	v_add_nc_u32_e32 v8, v8, v9
	v_mul_lo_u32 v9, s2, v2
	v_add_nc_u32_e32 v8, v8, v10
	s_delay_alu instid0(VALU_DEP_2) | instskip(NEXT) | instid1(VALU_DEP_2)
	v_mul_hi_u32 v10, v2, v9
	v_mul_lo_u32 v11, v2, v8
	v_mul_hi_u32 v12, v2, v8
	v_mul_hi_u32 v13, v7, v9
	v_mul_lo_u32 v9, v7, v9
	v_mul_hi_u32 v14, v7, v8
	v_mul_lo_u32 v8, v7, v8
	v_add_co_u32 v10, vcc_lo, v10, v11
	v_add_co_ci_u32_e32 v11, vcc_lo, 0, v12, vcc_lo
	s_delay_alu instid0(VALU_DEP_2) | instskip(NEXT) | instid1(VALU_DEP_2)
	v_add_co_u32 v9, vcc_lo, v10, v9
	v_add_co_ci_u32_e32 v9, vcc_lo, v11, v13, vcc_lo
	v_add_co_ci_u32_e32 v10, vcc_lo, 0, v14, vcc_lo
	s_delay_alu instid0(VALU_DEP_2) | instskip(NEXT) | instid1(VALU_DEP_2)
	v_add_co_u32 v8, vcc_lo, v9, v8
	v_add_co_ci_u32_e32 v9, vcc_lo, 0, v10, vcc_lo
	s_delay_alu instid0(VALU_DEP_2) | instskip(NEXT) | instid1(VALU_DEP_2)
	v_add_co_u32 v2, vcc_lo, v2, v8
	v_add_co_ci_u32_e32 v13, vcc_lo, v7, v9, vcc_lo
	s_delay_alu instid0(VALU_DEP_2) | instskip(SKIP_1) | instid1(VALU_DEP_3)
	v_mul_hi_u32 v14, v5, v2
	v_mad_u64_u32 v[9:10], null, v6, v2, 0
	v_mad_u64_u32 v[7:8], null, v5, v13, 0
	;; [unrolled: 1-line block ×3, first 2 shown]
	s_delay_alu instid0(VALU_DEP_2) | instskip(NEXT) | instid1(VALU_DEP_3)
	v_add_co_u32 v2, vcc_lo, v14, v7
	v_add_co_ci_u32_e32 v7, vcc_lo, 0, v8, vcc_lo
	s_delay_alu instid0(VALU_DEP_2) | instskip(NEXT) | instid1(VALU_DEP_2)
	v_add_co_u32 v2, vcc_lo, v2, v9
	v_add_co_ci_u32_e32 v2, vcc_lo, v7, v10, vcc_lo
	v_add_co_ci_u32_e32 v7, vcc_lo, 0, v12, vcc_lo
	s_delay_alu instid0(VALU_DEP_2) | instskip(NEXT) | instid1(VALU_DEP_2)
	v_add_co_u32 v2, vcc_lo, v2, v11
	v_add_co_ci_u32_e32 v9, vcc_lo, 0, v7, vcc_lo
	s_delay_alu instid0(VALU_DEP_2) | instskip(SKIP_1) | instid1(VALU_DEP_3)
	v_mul_lo_u32 v10, s21, v2
	v_mad_u64_u32 v[7:8], null, s20, v2, 0
	v_mul_lo_u32 v11, s20, v9
	s_delay_alu instid0(VALU_DEP_2) | instskip(NEXT) | instid1(VALU_DEP_2)
	v_sub_co_u32 v7, vcc_lo, v5, v7
	v_add3_u32 v8, v8, v11, v10
	s_delay_alu instid0(VALU_DEP_1) | instskip(NEXT) | instid1(VALU_DEP_1)
	v_sub_nc_u32_e32 v10, v6, v8
	v_subrev_co_ci_u32_e64 v10, s2, s21, v10, vcc_lo
	v_add_co_u32 v11, s2, v2, 2
	s_delay_alu instid0(VALU_DEP_1) | instskip(SKIP_3) | instid1(VALU_DEP_3)
	v_add_co_ci_u32_e64 v12, s2, 0, v9, s2
	v_sub_co_u32 v13, s2, v7, s20
	v_sub_co_ci_u32_e32 v8, vcc_lo, v6, v8, vcc_lo
	v_subrev_co_ci_u32_e64 v10, s2, 0, v10, s2
	v_cmp_le_u32_e32 vcc_lo, s20, v13
	s_delay_alu instid0(VALU_DEP_3) | instskip(SKIP_1) | instid1(VALU_DEP_4)
	v_cmp_eq_u32_e64 s2, s21, v8
	v_cndmask_b32_e64 v13, 0, -1, vcc_lo
	v_cmp_le_u32_e32 vcc_lo, s21, v10
	v_cndmask_b32_e64 v14, 0, -1, vcc_lo
	v_cmp_le_u32_e32 vcc_lo, s20, v7
	;; [unrolled: 2-line block ×3, first 2 shown]
	v_cndmask_b32_e64 v15, 0, -1, vcc_lo
	v_cmp_eq_u32_e32 vcc_lo, s21, v10
	s_delay_alu instid0(VALU_DEP_2) | instskip(SKIP_3) | instid1(VALU_DEP_3)
	v_cndmask_b32_e64 v7, v15, v7, s2
	v_cndmask_b32_e32 v10, v14, v13, vcc_lo
	v_add_co_u32 v13, vcc_lo, v2, 1
	v_add_co_ci_u32_e32 v14, vcc_lo, 0, v9, vcc_lo
	v_cmp_ne_u32_e32 vcc_lo, 0, v10
	s_delay_alu instid0(VALU_DEP_2) | instskip(NEXT) | instid1(VALU_DEP_4)
	v_cndmask_b32_e32 v8, v14, v12, vcc_lo
	v_cndmask_b32_e32 v10, v13, v11, vcc_lo
	v_cmp_ne_u32_e32 vcc_lo, 0, v7
	s_delay_alu instid0(VALU_DEP_2)
	v_dual_cndmask_b32 v7, v2, v10 :: v_dual_cndmask_b32 v8, v9, v8
.LBB0_4:                                ;   in Loop: Header=BB0_2 Depth=1
	s_and_not1_saveexec_b32 s2, s3
	s_cbranch_execz .LBB0_6
; %bb.5:                                ;   in Loop: Header=BB0_2 Depth=1
	v_cvt_f32_u32_e32 v2, s20
	s_sub_i32 s3, 0, s20
	s_delay_alu instid0(VALU_DEP_1) | instskip(SKIP_2) | instid1(VALU_DEP_1)
	v_rcp_iflag_f32_e32 v2, v2
	s_waitcnt_depctr 0xfff
	v_mul_f32_e32 v2, 0x4f7ffffe, v2
	v_cvt_u32_f32_e32 v2, v2
	s_delay_alu instid0(VALU_DEP_1) | instskip(NEXT) | instid1(VALU_DEP_1)
	v_mul_lo_u32 v7, s3, v2
	v_mul_hi_u32 v7, v2, v7
	s_delay_alu instid0(VALU_DEP_1) | instskip(NEXT) | instid1(VALU_DEP_1)
	v_add_nc_u32_e32 v2, v2, v7
	v_mul_hi_u32 v2, v5, v2
	s_delay_alu instid0(VALU_DEP_1) | instskip(SKIP_1) | instid1(VALU_DEP_2)
	v_mul_lo_u32 v7, v2, s20
	v_add_nc_u32_e32 v8, 1, v2
	v_sub_nc_u32_e32 v7, v5, v7
	s_delay_alu instid0(VALU_DEP_1) | instskip(SKIP_1) | instid1(VALU_DEP_2)
	v_subrev_nc_u32_e32 v9, s20, v7
	v_cmp_le_u32_e32 vcc_lo, s20, v7
	v_dual_cndmask_b32 v7, v7, v9 :: v_dual_cndmask_b32 v2, v2, v8
	s_delay_alu instid0(VALU_DEP_1) | instskip(NEXT) | instid1(VALU_DEP_2)
	v_cmp_le_u32_e32 vcc_lo, s20, v7
	v_add_nc_u32_e32 v8, 1, v2
	s_delay_alu instid0(VALU_DEP_1)
	v_dual_cndmask_b32 v7, v2, v8 :: v_dual_mov_b32 v8, v1
.LBB0_6:                                ;   in Loop: Header=BB0_2 Depth=1
	s_or_b32 exec_lo, exec_lo, s2
	s_load_b64 s[2:3], s[14:15], 0x0
	s_delay_alu instid0(VALU_DEP_1) | instskip(NEXT) | instid1(VALU_DEP_2)
	v_mul_lo_u32 v2, v8, s20
	v_mul_lo_u32 v11, v7, s21
	v_mad_u64_u32 v[9:10], null, v7, s20, 0
	s_add_u32 s18, s18, 1
	s_addc_u32 s19, s19, 0
	s_add_u32 s14, s14, 8
	s_addc_u32 s15, s15, 0
	;; [unrolled: 2-line block ×3, first 2 shown]
	s_delay_alu instid0(VALU_DEP_1) | instskip(SKIP_1) | instid1(VALU_DEP_2)
	v_add3_u32 v2, v10, v11, v2
	v_sub_co_u32 v9, vcc_lo, v5, v9
	v_sub_co_ci_u32_e32 v2, vcc_lo, v6, v2, vcc_lo
	s_waitcnt lgkmcnt(0)
	s_delay_alu instid0(VALU_DEP_2) | instskip(NEXT) | instid1(VALU_DEP_2)
	v_mul_lo_u32 v10, s3, v9
	v_mul_lo_u32 v2, s2, v2
	v_mad_u64_u32 v[5:6], null, s2, v9, v[3:4]
	v_cmp_ge_u64_e64 s2, s[18:19], s[6:7]
	s_delay_alu instid0(VALU_DEP_1) | instskip(NEXT) | instid1(VALU_DEP_2)
	s_and_b32 vcc_lo, exec_lo, s2
	v_add3_u32 v4, v10, v6, v2
	s_delay_alu instid0(VALU_DEP_3)
	v_mov_b32_e32 v3, v5
	s_cbranch_vccnz .LBB0_9
; %bb.7:                                ;   in Loop: Header=BB0_2 Depth=1
	v_dual_mov_b32 v5, v7 :: v_dual_mov_b32 v6, v8
	s_branch .LBB0_2
.LBB0_8:
	v_dual_mov_b32 v8, v6 :: v_dual_mov_b32 v7, v5
.LBB0_9:
	s_lshl_b64 s[2:3], s[6:7], 3
	v_mul_hi_u32 v1, 0x1a41a42, v0
	s_add_u32 s2, s12, s2
	s_addc_u32 s3, s13, s3
                                        ; implicit-def: $vgpr31
                                        ; implicit-def: $vgpr29
                                        ; implicit-def: $vgpr25
                                        ; implicit-def: $vgpr27
                                        ; implicit-def: $vgpr23
                                        ; implicit-def: $vgpr13
                                        ; implicit-def: $vgpr15
                                        ; implicit-def: $vgpr11
	s_load_b64 s[2:3], s[2:3], 0x0
	s_load_b64 s[0:1], s[0:1], 0x20
	s_delay_alu instid0(VALU_DEP_1) | instskip(NEXT) | instid1(VALU_DEP_1)
	v_mul_u32_u24_e32 v1, 0x9c, v1
	v_sub_nc_u32_e32 v34, v0, v1
	v_dual_mov_b32 v1, 0 :: v_dual_mov_b32 v0, 0
	s_waitcnt lgkmcnt(0)
	v_mul_lo_u32 v2, s2, v8
	v_mul_lo_u32 v9, s3, v7
	v_mad_u64_u32 v[5:6], null, s2, v7, v[3:4]
	v_cmp_gt_u64_e32 vcc_lo, s[0:1], v[7:8]
	v_cmp_gt_u32_e64 s0, 0x78, v34
                                        ; implicit-def: $vgpr3
                                        ; implicit-def: $vgpr7
	s_delay_alu instid0(VALU_DEP_1) | instskip(NEXT) | instid1(VALU_DEP_3)
	s_and_b32 s1, vcc_lo, s0
	v_add3_u32 v6, v9, v6, v2
                                        ; implicit-def: $vgpr9
	s_delay_alu instid0(VALU_DEP_1)
	v_lshlrev_b64 v[16:17], 3, v[5:6]
                                        ; implicit-def: $vgpr5
	s_and_saveexec_b32 s2, s1
	s_cbranch_execz .LBB0_11
; %bb.10:
	v_add_nc_u32_e32 v11, 0x78, v34
	v_mad_u64_u32 v[0:1], null, s8, v34, 0
	v_add_nc_u32_e32 v13, 0x168, v34
	v_add_co_u32 v38, s1, s10, v16
	s_delay_alu instid0(VALU_DEP_4) | instskip(NEXT) | instid1(VALU_DEP_3)
	v_mad_u64_u32 v[2:3], null, s8, v11, 0
	v_mad_u64_u32 v[6:7], null, s8, v13, 0
	v_add_co_ci_u32_e64 v39, s1, s11, v17, s1
	v_add_nc_u32_e32 v19, 0x2d0, v34
	v_add_nc_u32_e32 v18, 0x258, v34
	v_mad_u64_u32 v[8:9], null, s9, v34, v[1:2]
	v_add_nc_u32_e32 v12, 0xf0, v34
	s_delay_alu instid0(VALU_DEP_2) | instskip(NEXT) | instid1(VALU_DEP_2)
	v_dual_mov_b32 v1, v8 :: v_dual_add_nc_u32 v20, 0x3c0, v34
	v_mad_u64_u32 v[4:5], null, s8, v12, 0
	s_delay_alu instid0(VALU_DEP_2) | instskip(NEXT) | instid1(VALU_DEP_2)
	v_lshlrev_b64 v[0:1], 3, v[0:1]
	v_mad_u64_u32 v[9:10], null, s9, v11, v[3:4]
	v_add_nc_u32_e32 v14, 0x1e0, v34
	s_delay_alu instid0(VALU_DEP_3) | instskip(NEXT) | instid1(VALU_DEP_1)
	v_add_co_u32 v0, s1, v38, v0
	v_add_co_ci_u32_e64 v1, s1, v39, v1, s1
	s_delay_alu instid0(VALU_DEP_4) | instskip(SKIP_1) | instid1(VALU_DEP_2)
	v_mov_b32_e32 v3, v9
	v_mad_u64_u32 v[8:9], null, s9, v12, v[5:6]
	v_lshlrev_b64 v[2:3], 3, v[2:3]
	s_delay_alu instid0(VALU_DEP_2) | instskip(SKIP_2) | instid1(VALU_DEP_4)
	v_mad_u64_u32 v[9:10], null, s9, v13, v[7:8]
	v_mad_u64_u32 v[10:11], null, s8, v14, 0
	v_mov_b32_e32 v5, v8
	v_add_co_u32 v2, s1, v38, v2
	s_delay_alu instid0(VALU_DEP_1) | instskip(NEXT) | instid1(VALU_DEP_4)
	v_add_co_ci_u32_e64 v3, s1, v39, v3, s1
	v_dual_mov_b32 v7, v9 :: v_dual_mov_b32 v8, v11
	s_delay_alu instid0(VALU_DEP_4) | instskip(NEXT) | instid1(VALU_DEP_2)
	v_lshlrev_b64 v[4:5], 3, v[4:5]
	v_lshlrev_b64 v[6:7], 3, v[6:7]
	s_delay_alu instid0(VALU_DEP_3) | instskip(SKIP_1) | instid1(VALU_DEP_4)
	v_mad_u64_u32 v[11:12], null, s9, v14, v[8:9]
	v_mad_u64_u32 v[8:9], null, s8, v18, 0
	v_add_co_u32 v4, s1, v38, v4
	s_delay_alu instid0(VALU_DEP_1) | instskip(SKIP_1) | instid1(VALU_DEP_4)
	v_add_co_ci_u32_e64 v5, s1, v39, v5, s1
	v_mad_u64_u32 v[12:13], null, s8, v19, 0
	v_mad_u64_u32 v[14:15], null, s9, v18, v[9:10]
	v_add_nc_u32_e32 v15, 0x348, v34
	v_add_co_u32 v6, s1, v38, v6
	s_delay_alu instid0(VALU_DEP_1)
	v_add_co_ci_u32_e64 v7, s1, v39, v7, s1
	s_clause 0x3
	global_load_b64 v[0:1], v[0:1], off
	global_load_b64 v[30:31], v[2:3], off
	;; [unrolled: 1-line block ×4, first 2 shown]
	v_mad_u64_u32 v[5:6], null, s8, v15, 0
	v_mov_b32_e32 v4, v13
	v_lshlrev_b64 v[2:3], 3, v[10:11]
	v_mov_b32_e32 v9, v14
	s_delay_alu instid0(VALU_DEP_3) | instskip(SKIP_1) | instid1(VALU_DEP_3)
	v_mad_u64_u32 v[10:11], null, s9, v19, v[4:5]
	v_mov_b32_e32 v4, v6
	v_lshlrev_b64 v[6:7], 3, v[8:9]
	v_add_co_u32 v2, s1, v38, v2
	s_delay_alu instid0(VALU_DEP_1) | instskip(NEXT) | instid1(VALU_DEP_4)
	v_add_co_ci_u32_e64 v3, s1, v39, v3, s1
	v_mad_u64_u32 v[8:9], null, s9, v15, v[4:5]
	v_mad_u64_u32 v[14:15], null, s8, v20, 0
	v_add_co_u32 v9, s1, v38, v6
	v_mov_b32_e32 v13, v10
	v_add_co_ci_u32_e64 v10, s1, v39, v7, s1
	v_mov_b32_e32 v6, v8
	v_mov_b32_e32 v4, v15
	s_delay_alu instid0(VALU_DEP_4) | instskip(NEXT) | instid1(VALU_DEP_3)
	v_lshlrev_b64 v[11:12], 3, v[12:13]
	v_lshlrev_b64 v[5:6], 3, v[5:6]
	s_delay_alu instid0(VALU_DEP_2) | instskip(NEXT) | instid1(VALU_DEP_1)
	v_add_co_u32 v11, s1, v38, v11
	v_add_co_ci_u32_e64 v12, s1, v39, v12, s1
	s_delay_alu instid0(VALU_DEP_3) | instskip(SKIP_1) | instid1(VALU_DEP_1)
	v_mad_u64_u32 v[18:19], null, s9, v20, v[4:5]
	v_add_co_u32 v5, s1, v38, v5
	v_add_co_ci_u32_e64 v6, s1, v39, v6, s1
	s_delay_alu instid0(VALU_DEP_3) | instskip(NEXT) | instid1(VALU_DEP_1)
	v_dual_mov_b32 v15, v18 :: v_dual_add_nc_u32 v18, 0x528, v34
	v_mad_u64_u32 v[32:33], null, s8, v18, 0
	v_add_nc_u32_e32 v13, 0x4b0, v34
	s_delay_alu instid0(VALU_DEP_1) | instskip(SKIP_1) | instid1(VALU_DEP_1)
	v_mad_u64_u32 v[19:20], null, s8, v13, 0
	v_add_nc_u32_e32 v23, 0x438, v34
	v_mad_u64_u32 v[7:8], null, s8, v23, 0
	s_delay_alu instid0(VALU_DEP_1) | instskip(NEXT) | instid1(VALU_DEP_1)
	v_mov_b32_e32 v4, v8
	v_mad_u64_u32 v[21:22], null, s9, v23, v[4:5]
	v_mov_b32_e32 v4, v20
	s_delay_alu instid0(VALU_DEP_1)
	v_mad_u64_u32 v[35:36], null, s9, v13, v[4:5]
	s_clause 0x3
	global_load_b64 v[26:27], v[2:3], off
	global_load_b64 v[22:23], v[9:10], off
	;; [unrolled: 1-line block ×4, first 2 shown]
	v_lshlrev_b64 v[3:4], 3, v[14:15]
	v_mov_b32_e32 v2, v33
	v_mov_b32_e32 v8, v21
	s_delay_alu instid0(VALU_DEP_2) | instskip(SKIP_2) | instid1(VALU_DEP_4)
	v_mad_u64_u32 v[5:6], null, s9, v18, v[2:3]
	v_add_nc_u32_e32 v40, 0x5a0, v34
	v_add_co_u32 v3, s1, v38, v3
	v_lshlrev_b64 v[6:7], 3, v[7:8]
	v_add_co_ci_u32_e64 v4, s1, v39, v4, s1
	v_mov_b32_e32 v33, v5
	v_mad_u64_u32 v[36:37], null, s8, v40, 0
	s_delay_alu instid0(VALU_DEP_4) | instskip(NEXT) | instid1(VALU_DEP_1)
	v_add_co_u32 v5, s1, v38, v6
	v_add_co_ci_u32_e64 v6, s1, v39, v7, s1
	s_delay_alu instid0(VALU_DEP_3) | instskip(NEXT) | instid1(VALU_DEP_1)
	v_mov_b32_e32 v2, v37
	v_mad_u64_u32 v[8:9], null, s9, v40, v[2:3]
	s_delay_alu instid0(VALU_DEP_1) | instskip(NEXT) | instid1(VALU_DEP_1)
	v_dual_mov_b32 v20, v35 :: v_dual_mov_b32 v37, v8
	v_lshlrev_b64 v[14:15], 3, v[19:20]
	v_lshlrev_b64 v[18:19], 3, v[32:33]
	s_delay_alu instid0(VALU_DEP_3) | instskip(NEXT) | instid1(VALU_DEP_3)
	v_lshlrev_b64 v[7:8], 3, v[36:37]
	v_add_co_u32 v20, s1, v38, v14
	s_delay_alu instid0(VALU_DEP_1) | instskip(NEXT) | instid1(VALU_DEP_4)
	v_add_co_ci_u32_e64 v21, s1, v39, v15, s1
	v_add_co_u32 v18, s1, v38, v18
	s_delay_alu instid0(VALU_DEP_1) | instskip(SKIP_1) | instid1(VALU_DEP_1)
	v_add_co_ci_u32_e64 v19, s1, v39, v19, s1
	v_add_co_u32 v32, s1, v38, v7
	v_add_co_ci_u32_e64 v33, s1, v39, v8, s1
	s_clause 0x4
	global_load_b64 v[14:15], v[3:4], off
	global_load_b64 v[8:9], v[5:6], off
	;; [unrolled: 1-line block ×5, first 2 shown]
.LBB0_11:
	s_or_b32 exec_lo, exec_lo, s2
	s_waitcnt vmcnt(0)
	v_dual_sub_f32 v50, v30, v2 :: v_dual_add_f32 v37, v31, v3
	v_dual_add_f32 v47, v30, v2 :: v_dual_add_f32 v48, v28, v4
	s_delay_alu instid0(VALU_DEP_2) | instskip(NEXT) | instid1(VALU_DEP_2)
	v_dual_sub_f32 v35, v31, v3 :: v_dual_mul_f32 v56, 0xbf52af12, v50
	v_dual_sub_f32 v36, v29, v5 :: v_dual_mul_f32 v55, 0x3f116cb1, v47
	v_dual_sub_f32 v49, v28, v4 :: v_dual_add_f32 v38, v29, v5
	s_delay_alu instid0(VALU_DEP_4) | instskip(NEXT) | instid1(VALU_DEP_4)
	v_mul_f32_e32 v85, 0xbf788fa5, v48
	v_fma_f32 v19, 0x3f116cb1, v37, -v56
	v_mul_f32_e32 v84, 0xbf7e222b, v50
	v_fmamk_f32 v18, v35, 0xbf52af12, v55
	v_dual_mul_f32 v59, 0xbeb58ec6, v48 :: v_dual_sub_f32 v52, v24, v6
	v_add_f32_e32 v53, v26, v8
	v_add_f32_e32 v19, v1, v19
	v_fma_f32 v21, 0x3df6dbef, v37, -v84
	v_mul_f32_e32 v80, 0x3df6dbef, v47
	v_add_f32_e32 v18, v0, v18
	v_dual_fmamk_f32 v32, v36, 0xbf6f5d39, v59 :: v_dual_sub_f32 v39, v25, v7
	v_mul_f32_e32 v62, 0xbf6f5d39, v49
	s_delay_alu instid0(VALU_DEP_4) | instskip(NEXT) | instid1(VALU_DEP_3)
	v_dual_add_f32 v21, v1, v21 :: v_dual_fmamk_f32 v20, v35, 0xbf7e222b, v80
	v_dual_add_f32 v51, v24, v6 :: v_dual_add_f32 v18, v18, v32
	v_fmamk_f32 v33, v36, 0xbe750f2a, v85
	s_delay_alu instid0(VALU_DEP_4) | instskip(NEXT) | instid1(VALU_DEP_4)
	v_fma_f32 v32, 0xbeb58ec6, v38, -v62
	v_dual_add_f32 v20, v0, v20 :: v_dual_mul_f32 v87, 0xbe750f2a, v49
	v_dual_add_f32 v40, v25, v7 :: v_dual_mul_f32 v65, 0xbe750f2a, v52
	s_delay_alu instid0(VALU_DEP_2) | instskip(SKIP_1) | instid1(VALU_DEP_4)
	v_dual_add_f32 v19, v19, v32 :: v_dual_add_f32 v20, v20, v33
	v_mul_f32_e32 v89, 0x3f6f5d39, v52
	v_fma_f32 v41, 0xbf788fa5, v38, -v87
	v_mul_f32_e32 v64, 0xbf788fa5, v51
	v_fma_f32 v32, 0xbf788fa5, v40, -v65
	;; [unrolled: 2-line block ×3, first 2 shown]
	s_delay_alu instid0(VALU_DEP_4) | instskip(NEXT) | instid1(VALU_DEP_4)
	v_dual_add_f32 v21, v21, v41 :: v_dual_fmamk_f32 v42, v39, 0xbe750f2a, v64
	v_add_f32_e32 v19, v19, v32
	s_delay_alu instid0(VALU_DEP_4) | instskip(NEXT) | instid1(VALU_DEP_3)
	v_dual_sub_f32 v54, v26, v8 :: v_dual_fmamk_f32 v33, v39, 0x3f6f5d39, v86
	v_dual_add_f32 v21, v21, v43 :: v_dual_add_f32 v18, v18, v42
	v_sub_f32_e32 v41, v27, v9
	s_delay_alu instid0(VALU_DEP_3) | instskip(SKIP_3) | instid1(VALU_DEP_4)
	v_dual_add_f32 v42, v27, v9 :: v_dual_mul_f32 v71, 0x3f29c268, v54
	v_mul_f32_e32 v92, 0x3eedf032, v54
	v_dual_add_f32 v20, v20, v33 :: v_dual_sub_f32 v43, v23, v15
	v_add_f32_e32 v57, v22, v14
	v_fma_f32 v32, 0xbf3f9e67, v42, -v71
	v_mul_f32_e32 v66, 0xbf3f9e67, v53
	v_fma_f32 v33, 0x3f62ad3f, v42, -v92
	v_add_f32_e32 v60, v12, v10
	s_delay_alu instid0(VALU_DEP_4) | instskip(NEXT) | instid1(VALU_DEP_4)
	v_dual_mul_f32 v90, 0x3f116cb1, v57 :: v_dual_add_f32 v19, v19, v32
	v_fmamk_f32 v44, v41, 0x3f29c268, v66
	v_mul_f32_e32 v88, 0x3f62ad3f, v53
	v_add_f32_e32 v21, v21, v33
	v_mul_f32_e32 v76, 0x3df6dbef, v57
	v_fmamk_f32 v46, v43, 0xbf52af12, v90
	v_add_f32_e32 v18, v18, v44
	v_dual_fmamk_f32 v32, v41, 0x3eedf032, v88 :: v_dual_sub_f32 v63, v12, v10
	s_delay_alu instid0(VALU_DEP_4) | instskip(SKIP_1) | instid1(VALU_DEP_3)
	v_dual_fmamk_f32 v45, v43, 0x3f7e222b, v76 :: v_dual_sub_f32 v58, v22, v14
	v_mul_f32_e32 v91, 0xbf3f9e67, v60
	v_dual_add_f32 v20, v20, v32 :: v_dual_mul_f32 v83, 0x3eedf032, v63
	s_delay_alu instid0(VALU_DEP_3) | instskip(NEXT) | instid1(VALU_DEP_4)
	v_dual_add_f32 v18, v18, v45 :: v_dual_sub_f32 v45, v13, v11
	v_dual_add_f32 v44, v23, v15 :: v_dual_mul_f32 v93, 0xbf52af12, v58
	s_delay_alu instid0(VALU_DEP_3) | instskip(SKIP_1) | instid1(VALU_DEP_4)
	v_add_f32_e32 v20, v20, v46
	v_add_f32_e32 v46, v13, v11
	v_fmamk_f32 v61, v45, 0xbf29c268, v91
	v_mul_f32_e32 v82, 0x3f62ad3f, v60
	v_mul_f32_e32 v94, 0xbf29c268, v63
	s_delay_alu instid0(VALU_DEP_4) | instskip(SKIP_2) | instid1(VALU_DEP_4)
	v_fma_f32 v33, 0x3f62ad3f, v46, -v83
	v_mul_f32_e32 v78, 0x3f7e222b, v58
	v_add_f32_e32 v20, v20, v61
	v_fma_f32 v67, 0xbf3f9e67, v46, -v94
	s_delay_alu instid0(VALU_DEP_3) | instskip(NEXT) | instid1(VALU_DEP_1)
	v_fma_f32 v32, 0x3df6dbef, v44, -v78
	v_add_f32_e32 v19, v19, v32
	v_fma_f32 v32, 0x3f116cb1, v44, -v93
	s_delay_alu instid0(VALU_DEP_2) | instskip(NEXT) | instid1(VALU_DEP_2)
	v_add_f32_e32 v19, v19, v33
	v_add_f32_e32 v21, v21, v32
	v_fmamk_f32 v32, v45, 0x3eedf032, v82
	s_delay_alu instid0(VALU_DEP_1)
	v_dual_add_f32 v21, v21, v67 :: v_dual_add_f32 v18, v18, v32
	s_and_saveexec_b32 s1, s0
	s_cbranch_execz .LBB0_13
; %bb.12:
	v_mul_f32_e32 v69, 0x3f62ad3f, v48
	v_dual_mul_f32 v73, 0x3f116cb1, v53 :: v_dual_add_f32 v30, v0, v30
	v_dual_add_f32 v31, v1, v31 :: v_dual_mul_f32 v100, 0x3df6dbef, v48
	v_mul_f32_e32 v77, 0xbf6f5d39, v58
	v_mul_f32_e32 v116, 0xbf7e222b, v54
	;; [unrolled: 1-line block ×4, first 2 shown]
	v_fmamk_f32 v103, v36, 0xbf7e222b, v100
	v_fmamk_f32 v96, v41, 0xbf52af12, v73
	v_fmamk_f32 v68, v36, 0xbeedf032, v69
	v_mul_f32_e32 v70, 0xbf788fa5, v47
	v_fmamk_f32 v97, v44, 0xbeb58ec6, v77
	v_fmamk_f32 v111, v45, 0x3f6f5d39, v110
	v_add_f32_e32 v31, v31, v29
	v_mul_f32_e32 v115, 0x3eedf032, v52
	v_fmamk_f32 v33, v35, 0x3e750f2a, v70
	v_mul_f32_e32 v74, 0xbe750f2a, v50
	v_mul_f32_e32 v122, 0xbe750f2a, v36
	v_fmac_f32_e32 v73, 0x3f52af12, v41
	s_delay_alu instid0(VALU_DEP_4) | instskip(NEXT) | instid1(VALU_DEP_4)
	v_dual_mul_f32 v104, 0x3f116cb1, v51 :: v_dual_add_f32 v33, v0, v33
	v_fmamk_f32 v32, v37, 0xbf788fa5, v74
	v_mul_f32_e32 v79, 0x3eedf032, v49
	v_dual_sub_f32 v85, v85, v122 :: v_dual_add_f32 v30, v30, v28
	s_delay_alu instid0(VALU_DEP_4) | instskip(NEXT) | instid1(VALU_DEP_3)
	v_add_f32_e32 v33, v33, v68
	v_dual_add_f32 v32, v1, v32 :: v_dual_fmamk_f32 v61, v38, 0x3f62ad3f, v79
	s_delay_alu instid0(VALU_DEP_3) | instskip(SKIP_2) | instid1(VALU_DEP_4)
	v_dual_mul_f32 v105, 0x3e750f2a, v54 :: v_dual_add_f32 v30, v30, v24
	v_mul_f32_e32 v106, 0xbf788fa5, v53
	v_mul_f32_e32 v24, 0xbf788fa5, v38
	v_dual_add_f32 v32, v32, v61 :: v_dual_mul_f32 v67, 0xbf3f9e67, v51
	v_mul_f32_e32 v112, 0xbeb58ec6, v47
	v_add_f32_e32 v30, v30, v26
	s_delay_alu instid0(VALU_DEP_4)
	v_add_f32_e32 v24, v24, v87
	v_mul_f32_e32 v87, 0xbf7e222b, v35
	v_fmamk_f32 v61, v39, 0x3f29c268, v67
	v_mul_f32_e32 v72, 0xbf29c268, v52
	v_mul_f32_e32 v109, 0xbf6f5d39, v50
	;; [unrolled: 1-line block ×3, first 2 shown]
	s_delay_alu instid0(VALU_DEP_4) | instskip(NEXT) | instid1(VALU_DEP_4)
	v_dual_sub_f32 v80, v80, v87 :: v_dual_add_f32 v33, v33, v61
	v_dual_fmamk_f32 v81, v40, 0xbf3f9e67, v72 :: v_dual_add_f32 v30, v30, v22
	s_delay_alu instid0(VALU_DEP_3) | instskip(NEXT) | instid1(VALU_DEP_3)
	v_add_f32_e32 v26, v26, v94
	v_add_f32_e32 v80, v0, v80
	s_delay_alu instid0(VALU_DEP_3) | instskip(SKIP_4) | instid1(VALU_DEP_4)
	v_dual_add_f32 v33, v33, v96 :: v_dual_add_f32 v32, v32, v81
	v_mul_f32_e32 v75, 0x3f52af12, v54
	v_mul_f32_e32 v68, 0xbeb58ec6, v57
	;; [unrolled: 1-line block ×3, first 2 shown]
	v_dual_mul_f32 v61, 0x3df6dbef, v60 :: v_dual_add_f32 v80, v80, v85
	v_fmamk_f32 v95, v42, 0x3f116cb1, v75
	v_mul_f32_e32 v85, 0x3f116cb1, v44
	s_delay_alu instid0(VALU_DEP_4) | instskip(SKIP_1) | instid1(VALU_DEP_4)
	v_fmamk_f32 v96, v46, 0x3df6dbef, v81
	v_mul_f32_e32 v119, 0x3e750f2a, v58
	v_dual_mul_f32 v121, 0x3df6dbef, v53 :: v_dual_add_f32 v32, v32, v95
	v_fmamk_f32 v95, v43, 0x3f6f5d39, v68
	v_mul_f32_e32 v54, 0xbf6f5d39, v54
	v_add_f32_e32 v12, v30, v12
	v_mul_f32_e32 v58, 0xbf29c268, v58
	v_dual_add_f32 v32, v32, v97 :: v_dual_fmamk_f32 v97, v45, 0xbf7e222b, v61
	v_dual_add_f32 v95, v33, v95 :: v_dual_mul_f32 v98, 0xbf29c268, v50
	s_delay_alu instid0(VALU_DEP_2) | instskip(SKIP_1) | instid1(VALU_DEP_3)
	v_dual_mul_f32 v50, 0xbeedf032, v50 :: v_dual_add_f32 v33, v32, v96
	v_add_f32_e32 v12, v12, v10
	v_dual_add_f32 v32, v95, v97 :: v_dual_mul_f32 v95, 0xbf3f9e67, v47
	s_delay_alu instid0(VALU_DEP_4) | instskip(SKIP_3) | instid1(VALU_DEP_4)
	v_fmamk_f32 v96, v37, 0xbf3f9e67, v98
	v_mul_f32_e32 v97, 0x3f7e222b, v49
	v_fmac_f32_e32 v70, 0xbe750f2a, v35
	v_fmac_f32_e32 v68, 0xbf6f5d39, v43
	v_dual_fmamk_f32 v99, v35, 0x3f29c268, v95 :: v_dual_add_f32 v96, v1, v96
	s_delay_alu instid0(VALU_DEP_4) | instskip(SKIP_2) | instid1(VALU_DEP_4)
	v_fmamk_f32 v101, v38, 0x3df6dbef, v97
	v_add_f32_e32 v12, v14, v12
	v_fma_f32 v14, 0xbf3f9e67, v40, -v72
	v_dual_add_f32 v99, v0, v99 :: v_dual_fmac_f32 v100, 0x3f7e222b, v36
	s_delay_alu instid0(VALU_DEP_4) | instskip(NEXT) | instid1(VALU_DEP_4)
	v_add_f32_e32 v96, v96, v101
	v_add_f32_e32 v8, v8, v12
	v_fma_f32 v12, 0x3f116cb1, v42, -v75
	s_delay_alu instid0(VALU_DEP_4)
	v_add_f32_e32 v99, v99, v103
	v_fmamk_f32 v103, v39, 0x3f52af12, v104
	v_mul_f32_e32 v102, 0xbf52af12, v52
	v_mul_f32_e32 v52, 0xbf7e222b, v52
	v_add_f32_e32 v6, v6, v8
	v_fmac_f32_e32 v104, 0xbf52af12, v39
	v_add_f32_e32 v99, v99, v103
	v_fmamk_f32 v101, v40, 0x3f116cb1, v102
	v_fma_f32 v8, 0xbeb58ec6, v44, -v77
	v_dual_add_f32 v4, v4, v6 :: v_dual_mul_f32 v53, 0xbeb58ec6, v53
	v_fmac_f32_e32 v110, 0xbf6f5d39, v45
	s_delay_alu instid0(VALU_DEP_4) | instskip(NEXT) | instid1(VALU_DEP_3)
	v_dual_add_f32 v96, v96, v101 :: v_dual_fmamk_f32 v101, v42, 0xbf788fa5, v105
	v_dual_add_f32 v2, v2, v4 :: v_dual_fmamk_f32 v103, v41, 0xbe750f2a, v106
	v_mul_f32_e32 v108, 0x3f62ad3f, v57
	v_fmac_f32_e32 v106, 0x3e750f2a, v41
	s_delay_alu instid0(VALU_DEP_4) | instskip(NEXT) | instid1(VALU_DEP_4)
	v_add_f32_e32 v29, v96, v101
	v_dual_fmamk_f32 v96, v44, 0x3f62ad3f, v107 :: v_dual_add_f32 v99, v99, v103
	s_delay_alu instid0(VALU_DEP_4) | instskip(SKIP_1) | instid1(VALU_DEP_3)
	v_fmamk_f32 v101, v43, 0xbeedf032, v108
	v_mul_f32_e32 v103, 0xbf6f5d39, v63
	v_dual_add_f32 v31, v31, v25 :: v_dual_add_f32 v28, v29, v96
	s_delay_alu instid0(VALU_DEP_3) | instskip(SKIP_1) | instid1(VALU_DEP_4)
	v_dual_fmamk_f32 v29, v37, 0xbeb58ec6, v109 :: v_dual_add_f32 v96, v99, v101
	v_mul_f32_e32 v99, 0x3f29c268, v49
	v_fmamk_f32 v101, v46, 0xbeb58ec6, v103
	s_delay_alu instid0(VALU_DEP_4) | instskip(NEXT) | instid1(VALU_DEP_4)
	v_add_f32_e32 v31, v31, v27
	v_add_f32_e32 v113, v1, v29
	v_mul_f32_e32 v49, 0xbf52af12, v49
	s_delay_alu instid0(VALU_DEP_4) | instskip(SKIP_3) | instid1(VALU_DEP_4)
	v_dual_fmamk_f32 v114, v38, 0xbf3f9e67, v99 :: v_dual_add_f32 v29, v28, v101
	v_fmamk_f32 v28, v35, 0x3f6f5d39, v112
	v_mul_f32_e32 v101, 0xbf3f9e67, v48
	v_dual_add_f32 v31, v31, v23 :: v_dual_mul_f32 v48, 0x3f116cb1, v48
	v_dual_add_f32 v113, v113, v114 :: v_dual_fmamk_f32 v114, v40, 0x3f62ad3f, v115
	s_delay_alu instid0(VALU_DEP_4) | instskip(NEXT) | instid1(VALU_DEP_4)
	v_add_f32_e32 v28, v0, v28
	v_fmamk_f32 v117, v36, 0xbf29c268, v101
	s_delay_alu instid0(VALU_DEP_4) | instskip(NEXT) | instid1(VALU_DEP_4)
	v_dual_mul_f32 v118, 0x3f62ad3f, v51 :: v_dual_add_f32 v13, v31, v13
	v_dual_add_f32 v113, v113, v114 :: v_dual_fmamk_f32 v114, v42, 0x3df6dbef, v116
	s_delay_alu instid0(VALU_DEP_3) | instskip(SKIP_2) | instid1(VALU_DEP_4)
	v_add_f32_e32 v117, v28, v117
	v_add_f32_e32 v28, v96, v111
	v_fmamk_f32 v111, v44, 0xbf788fa5, v119
	v_dual_mul_f32 v51, 0x3df6dbef, v51 :: v_dual_add_f32 v96, v113, v114
	v_fmamk_f32 v120, v39, 0xbeedf032, v118
	v_fmamk_f32 v114, v41, 0x3f7e222b, v121
	v_add_f32_e32 v13, v13, v11
	v_dual_fmac_f32 v69, 0x3eedf032, v36 :: v_dual_fmac_f32 v108, 0x3eedf032, v43
	v_add_f32_e32 v25, v96, v111
	v_add_f32_e32 v113, v117, v120
	v_mul_f32_e32 v117, 0xbf788fa5, v57
	v_dual_mul_f32 v120, 0x3f52af12, v63 :: v_dual_add_f32 v13, v15, v13
	v_fma_f32 v6, 0x3df6dbef, v46, -v81
	s_delay_alu instid0(VALU_DEP_4) | instskip(NEXT) | instid1(VALU_DEP_3)
	v_dual_add_f32 v96, v113, v114 :: v_dual_mul_f32 v113, 0x3df6dbef, v37
	v_dual_fmamk_f32 v114, v46, 0x3f116cb1, v120 :: v_dual_add_f32 v9, v9, v13
	v_fmac_f32_e32 v101, 0x3f29c268, v36
	v_fmac_f32_e32 v112, 0xbf6f5d39, v35
	s_delay_alu instid0(VALU_DEP_4) | instskip(SKIP_3) | instid1(VALU_DEP_4)
	v_add_f32_e32 v84, v113, v84
	v_mul_f32_e32 v113, 0xbeb58ec6, v40
	v_add_f32_e32 v25, v25, v114
	v_dual_add_f32 v7, v7, v9 :: v_dual_fmac_f32 v118, 0x3eedf032, v39
	v_add_f32_e32 v84, v1, v84
	s_delay_alu instid0(VALU_DEP_4) | instskip(SKIP_1) | instid1(VALU_DEP_3)
	v_add_f32_e32 v87, v113, v89
	v_mul_f32_e32 v89, 0x3f62ad3f, v42
	v_dual_add_f32 v5, v5, v7 :: v_dual_add_f32 v84, v84, v24
	s_delay_alu instid0(VALU_DEP_1) | instskip(SKIP_1) | instid1(VALU_DEP_2)
	v_dual_add_f32 v84, v84, v87 :: v_dual_add_f32 v87, v89, v92
	v_mul_f32_e32 v89, 0x3eedf032, v41
	v_dual_add_f32 v27, v84, v87 :: v_dual_add_f32 v84, v85, v93
	s_delay_alu instid0(VALU_DEP_2) | instskip(SKIP_1) | instid1(VALU_DEP_1)
	v_sub_f32_e32 v85, v88, v89
	v_fmamk_f32 v111, v43, 0xbe750f2a, v117
	v_dual_add_f32 v27, v27, v84 :: v_dual_add_f32 v96, v96, v111
	v_mul_f32_e32 v111, 0x3f116cb1, v60
	s_delay_alu instid0(VALU_DEP_1) | instskip(NEXT) | instid1(VALU_DEP_1)
	v_dual_add_f32 v27, v27, v26 :: v_dual_fmamk_f32 v114, v45, 0xbf52af12, v111
	v_add_f32_e32 v24, v96, v114
	v_mul_f32_e32 v96, 0x3f6f5d39, v39
	s_delay_alu instid0(VALU_DEP_1) | instskip(NEXT) | instid1(VALU_DEP_1)
	v_sub_f32_e32 v86, v86, v96
	v_add_f32_e32 v80, v80, v86
	v_mul_f32_e32 v86, 0xbf52af12, v43
	v_fmac_f32_e32 v121, 0xbf7e222b, v41
	s_delay_alu instid0(VALU_DEP_3) | instskip(NEXT) | instid1(VALU_DEP_3)
	v_add_f32_e32 v80, v80, v85
	v_dual_sub_f32 v84, v90, v86 :: v_dual_mul_f32 v85, 0xbf29c268, v45
	v_mul_f32_e32 v86, 0x3f116cb1, v37
	v_fmac_f32_e32 v111, 0x3f52af12, v45
	s_delay_alu instid0(VALU_DEP_3) | instskip(NEXT) | instid1(VALU_DEP_4)
	v_dual_fmac_f32 v61, 0x3f7e222b, v45 :: v_dual_add_f32 v80, v80, v84
	v_dual_sub_f32 v84, v91, v85 :: v_dual_mul_f32 v85, 0xbeb58ec6, v38
	s_delay_alu instid0(VALU_DEP_4) | instskip(SKIP_1) | instid1(VALU_DEP_3)
	v_dual_add_f32 v56, v86, v56 :: v_dual_mul_f32 v87, 0xbf52af12, v35
	v_mul_f32_e32 v86, 0xbf6f5d39, v36
	v_dual_fmac_f32 v67, 0xbf29c268, v39 :: v_dual_add_f32 v26, v85, v62
	s_delay_alu instid0(VALU_DEP_3) | instskip(NEXT) | instid1(VALU_DEP_3)
	v_add_f32_e32 v56, v1, v56
	v_dual_mul_f32 v62, 0xbf788fa5, v40 :: v_dual_sub_f32 v59, v59, v86
	s_delay_alu instid0(VALU_DEP_2) | instskip(NEXT) | instid1(VALU_DEP_2)
	v_dual_fmac_f32 v117, 0x3e750f2a, v43 :: v_dual_add_f32 v26, v56, v26
	v_add_f32_e32 v56, v62, v65
	v_mul_f32_e32 v62, 0xbf3f9e67, v42
	v_mul_f32_e32 v65, 0x3df6dbef, v44
	s_delay_alu instid0(VALU_DEP_3) | instskip(SKIP_1) | instid1(VALU_DEP_4)
	v_add_f32_e32 v56, v26, v56
	v_dual_add_f32 v26, v80, v84 :: v_dual_sub_f32 v55, v55, v87
	v_add_f32_e32 v62, v62, v71
	v_mul_f32_e32 v85, 0xbe750f2a, v39
	s_delay_alu instid0(VALU_DEP_3) | instskip(NEXT) | instid1(VALU_DEP_3)
	v_add_f32_e32 v55, v0, v55
	v_add_f32_e32 v56, v56, v62
	s_delay_alu instid0(VALU_DEP_2) | instskip(NEXT) | instid1(VALU_DEP_4)
	v_dual_add_f32 v62, v65, v78 :: v_dual_add_f32 v55, v55, v59
	v_sub_f32_e32 v59, v64, v85
	s_delay_alu instid0(VALU_DEP_2) | instskip(SKIP_1) | instid1(VALU_DEP_3)
	v_dual_mul_f32 v64, 0x3f29c268, v41 :: v_dual_add_f32 v23, v56, v62
	v_mul_f32_e32 v62, 0xbe750f2a, v63
	v_add_f32_e32 v55, v55, v59
	s_delay_alu instid0(VALU_DEP_3) | instskip(NEXT) | instid1(VALU_DEP_1)
	v_dual_sub_f32 v59, v66, v64 :: v_dual_mul_f32 v64, 0x3f7e222b, v43
	v_dual_sub_f32 v64, v76, v64 :: v_dual_add_f32 v55, v55, v59
	v_mul_f32_e32 v59, 0x3f62ad3f, v46
	s_delay_alu instid0(VALU_DEP_2) | instskip(NEXT) | instid1(VALU_DEP_2)
	v_add_f32_e32 v55, v55, v64
	v_dual_mul_f32 v65, 0x3eedf032, v45 :: v_dual_add_f32 v56, v59, v83
	s_delay_alu instid0(VALU_DEP_1) | instskip(NEXT) | instid1(VALU_DEP_2)
	v_sub_f32_e32 v59, v82, v65
	v_dual_add_f32 v23, v23, v56 :: v_dual_fmamk_f32 v56, v38, 0x3f116cb1, v49
	s_delay_alu instid0(VALU_DEP_2) | instskip(SKIP_2) | instid1(VALU_DEP_3)
	v_dual_add_f32 v22, v55, v59 :: v_dual_fmamk_f32 v55, v37, 0x3f62ad3f, v50
	v_fmamk_f32 v59, v36, 0x3f52af12, v48
	v_dual_fmac_f32 v48, 0xbf52af12, v36 :: v_dual_add_f32 v3, v3, v5
	v_add_f32_e32 v55, v1, v55
	s_delay_alu instid0(VALU_DEP_1) | instskip(NEXT) | instid1(VALU_DEP_1)
	v_dual_add_f32 v55, v55, v56 :: v_dual_fmamk_f32 v56, v40, 0x3df6dbef, v52
	v_dual_add_f32 v55, v55, v56 :: v_dual_fmamk_f32 v56, v42, 0xbeb58ec6, v54
	s_delay_alu instid0(VALU_DEP_1) | instskip(NEXT) | instid1(VALU_DEP_1)
	v_dual_add_f32 v55, v55, v56 :: v_dual_fmamk_f32 v56, v44, 0xbf3f9e67, v58
	v_dual_mul_f32 v47, 0x3f62ad3f, v47 :: v_dual_add_f32 v30, v55, v56
	s_delay_alu instid0(VALU_DEP_1) | instskip(SKIP_2) | instid1(VALU_DEP_3)
	v_fmamk_f32 v31, v35, 0x3eedf032, v47
	v_dual_fmamk_f32 v55, v46, 0xbf788fa5, v62 :: v_dual_mul_f32 v56, 0xbf788fa5, v60
	v_fmac_f32_e32 v47, 0xbeedf032, v35
	v_add_f32_e32 v31, v0, v31
	s_delay_alu instid0(VALU_DEP_3) | instskip(SKIP_1) | instid1(VALU_DEP_3)
	v_dual_add_f32 v11, v30, v55 :: v_dual_fmamk_f32 v30, v45, 0x3e750f2a, v56
	v_fma_f32 v55, 0x3f62ad3f, v38, -v79
	v_dual_fmac_f32 v56, 0xbe750f2a, v45 :: v_dual_add_f32 v31, v31, v59
	v_fmamk_f32 v59, v39, 0x3f7e222b, v51
	v_fmac_f32_e32 v51, 0xbf7e222b, v39
	s_delay_alu instid0(VALU_DEP_2) | instskip(SKIP_4) | instid1(VALU_DEP_4)
	v_add_f32_e32 v31, v31, v59
	v_fmamk_f32 v59, v41, 0x3f6f5d39, v53
	v_fmac_f32_e32 v53, 0xbf6f5d39, v41
	v_fmac_f32_e32 v95, 0xbf29c268, v35
	v_mul_f32_e32 v57, 0xbf3f9e67, v57
	v_add_f32_e32 v31, v31, v59
	s_delay_alu instid0(VALU_DEP_2) | instskip(NEXT) | instid1(VALU_DEP_1)
	v_fmamk_f32 v59, v43, 0x3f29c268, v57
	v_add_f32_e32 v31, v31, v59
	v_fma_f32 v59, 0xbf788fa5, v37, -v74
	s_delay_alu instid0(VALU_DEP_1) | instskip(NEXT) | instid1(VALU_DEP_1)
	v_add_f32_e32 v15, v1, v59
	v_add_f32_e32 v13, v15, v55
	;; [unrolled: 1-line block ×3, first 2 shown]
	s_delay_alu instid0(VALU_DEP_2) | instskip(NEXT) | instid1(VALU_DEP_2)
	v_add_f32_e32 v9, v13, v14
	v_add_f32_e32 v13, v15, v69
	v_fma_f32 v14, 0xbf788fa5, v46, -v62
	s_delay_alu instid0(VALU_DEP_3) | instskip(NEXT) | instid1(VALU_DEP_3)
	v_add_f32_e32 v7, v9, v12
	v_add_f32_e32 v9, v13, v67
	;; [unrolled: 1-line block ×3, first 2 shown]
	v_fma_f32 v12, 0xbf3f9e67, v38, -v99
	s_delay_alu instid0(VALU_DEP_4) | instskip(SKIP_1) | instid1(VALU_DEP_4)
	v_add_f32_e32 v5, v7, v8
	v_fma_f32 v8, 0xbf3f9e67, v37, -v98
	v_add_f32_e32 v13, v13, v101
	s_delay_alu instid0(VALU_DEP_3) | instskip(NEXT) | instid1(VALU_DEP_3)
	v_add_f32_e32 v5, v5, v6
	v_add_f32_e32 v6, v1, v8
	;; [unrolled: 1-line block ×4, first 2 shown]
	v_fmac_f32_e32 v57, 0xbf29c268, v43
	s_delay_alu instid0(VALU_DEP_3) | instskip(NEXT) | instid1(VALU_DEP_1)
	v_dual_add_f32 v13, v13, v118 :: v_dual_add_f32 v8, v8, v100
	v_dual_add_f32 v0, v0, v48 :: v_dual_add_f32 v13, v13, v121
	s_delay_alu instid0(VALU_DEP_2) | instskip(NEXT) | instid1(VALU_DEP_2)
	v_add_f32_e32 v8, v8, v104
	v_add_f32_e32 v0, v0, v51
	s_delay_alu instid0(VALU_DEP_3) | instskip(SKIP_1) | instid1(VALU_DEP_4)
	v_dual_add_f32 v10, v31, v30 :: v_dual_add_f32 v13, v13, v117
	v_mad_u32_u24 v30, 0x68, v34, 0
	v_add_f32_e32 v8, v8, v106
	s_delay_alu instid0(VALU_DEP_4) | instskip(NEXT) | instid1(VALU_DEP_2)
	v_add_f32_e32 v0, v0, v53
	v_add_f32_e32 v8, v8, v108
	s_delay_alu instid0(VALU_DEP_2) | instskip(SKIP_3) | instid1(VALU_DEP_3)
	v_add_f32_e32 v15, v0, v57
	v_add_f32_e32 v7, v9, v73
	v_fma_f32 v9, 0xbeb58ec6, v37, -v109
	v_add_f32_e32 v0, v13, v111
	v_add_f32_e32 v4, v7, v68
	v_fma_f32 v7, 0x3df6dbef, v38, -v97
	s_delay_alu instid0(VALU_DEP_4) | instskip(NEXT) | instid1(VALU_DEP_3)
	v_add_f32_e32 v9, v1, v9
	v_add_f32_e32 v4, v4, v61
	s_delay_alu instid0(VALU_DEP_3) | instskip(SKIP_1) | instid1(VALU_DEP_4)
	v_add_f32_e32 v6, v6, v7
	v_fma_f32 v7, 0x3f116cb1, v40, -v102
	v_add_f32_e32 v9, v9, v12
	v_fma_f32 v12, 0x3f62ad3f, v40, -v115
	s_delay_alu instid0(VALU_DEP_3) | instskip(SKIP_1) | instid1(VALU_DEP_3)
	v_add_f32_e32 v6, v6, v7
	v_fma_f32 v7, 0xbf788fa5, v42, -v105
	v_add_f32_e32 v9, v9, v12
	v_fma_f32 v12, 0x3df6dbef, v42, -v116
	s_delay_alu instid0(VALU_DEP_3) | instskip(SKIP_1) | instid1(VALU_DEP_3)
	v_add_f32_e32 v6, v6, v7
	v_fma_f32 v7, 0x3f62ad3f, v44, -v107
	v_add_f32_e32 v9, v9, v12
	v_fma_f32 v12, 0xbf788fa5, v44, -v119
	s_delay_alu instid0(VALU_DEP_3) | instskip(SKIP_1) | instid1(VALU_DEP_1)
	v_add_f32_e32 v6, v6, v7
	v_fma_f32 v7, 0xbeb58ec6, v46, -v103
	v_dual_add_f32 v7, v6, v7 :: v_dual_add_f32 v6, v8, v110
	s_delay_alu instid0(VALU_DEP_4) | instskip(SKIP_2) | instid1(VALU_DEP_2)
	v_add_f32_e32 v8, v9, v12
	v_fma_f32 v9, 0x3f62ad3f, v37, -v50
	v_fma_f32 v12, 0x3f116cb1, v46, -v120
	v_add_f32_e32 v1, v1, v9
	v_fma_f32 v9, 0x3f116cb1, v38, -v49
	s_delay_alu instid0(VALU_DEP_1) | instskip(SKIP_1) | instid1(VALU_DEP_1)
	v_add_f32_e32 v1, v1, v9
	v_fma_f32 v9, 0x3df6dbef, v40, -v52
	v_add_f32_e32 v1, v1, v9
	v_fma_f32 v9, 0xbeb58ec6, v42, -v54
	s_delay_alu instid0(VALU_DEP_1) | instskip(SKIP_1) | instid1(VALU_DEP_1)
	v_add_f32_e32 v1, v1, v9
	v_fma_f32 v9, 0xbf3f9e67, v44, -v58
	v_add_f32_e32 v9, v1, v9
	v_add_f32_e32 v1, v8, v12
	s_delay_alu instid0(VALU_DEP_2)
	v_dual_add_f32 v8, v15, v56 :: v_dual_add_f32 v9, v9, v14
	ds_store_2addr_b64 v30, v[2:3], v[10:11] offset1:1
	ds_store_2addr_b64 v30, v[22:23], v[26:27] offset0:2 offset1:3
	ds_store_2addr_b64 v30, v[24:25], v[28:29] offset0:4 offset1:5
	;; [unrolled: 1-line block ×5, first 2 shown]
	ds_store_b64 v30, v[8:9] offset:96
.LBB0_13:
	s_or_b32 exec_lo, exec_lo, s1
	v_and_b32_e32 v0, 0xff, v34
	v_add_nc_u32_e32 v30, 0x9c, v34
	v_add_nc_u32_e32 v29, 0x138, v34
	;; [unrolled: 1-line block ×3, first 2 shown]
	s_waitcnt lgkmcnt(0)
	v_mul_lo_u16 v27, 0x4f, v0
	v_and_b32_e32 v0, 0xffff, v30
	v_and_b32_e32 v1, 0xffff, v29
	s_barrier
	buffer_gl0_inv
	v_lshrrev_b16 v47, 10, v27
	v_mul_u32_u24_e32 v48, 0x4ec5, v0
	v_and_b32_e32 v0, 0xffff, v33
	v_mul_u32_u24_e32 v49, 0x4ec5, v1
	v_lshl_add_u32 v24, v34, 3, 0
	v_mul_lo_u16 v1, v47, 13
	v_lshrrev_b32_e32 v51, 18, v48
	v_mul_u32_u24_e32 v52, 0x4ec5, v0
	v_lshrrev_b32_e32 v53, 18, v49
	v_lshrrev_b32_e32 v48, 19, v48
	v_sub_nc_u16 v0, v34, v1
	v_mul_lo_u16 v1, v51, 13
	v_lshrrev_b32_e32 v55, 18, v52
	v_mul_u32_u24_e32 v51, 0xd0, v51
	v_lshrrev_b32_e32 v49, 19, v49
	v_and_b32_e32 v0, 0xff, v0
	v_sub_nc_u16 v1, v30, v1
	v_mul_lo_u16 v4, v55, 13
	v_lshrrev_b16 v61, 11, v27
	v_lshrrev_b32_e32 v52, 19, v52
	v_lshlrev_b32_e32 v56, 3, v0
	v_and_b32_e32 v1, 0xffff, v1
	v_mul_lo_u16 v63, v48, 26
	v_mul_lo_u16 v64, v49, 26
	;; [unrolled: 1-line block ×3, first 2 shown]
	global_load_b64 v[22:23], v56, s[4:5]
	v_lshlrev_b32_e32 v57, 3, v1
	v_mul_lo_u16 v66, v52, 26
	v_mul_u32_u24_e32 v55, 0xd0, v55
	v_sub_nc_u16 v62, v34, v62
	v_lshrrev_b16 v27, 12, v27
	global_load_b64 v[25:26], v57, s[4:5]
	v_add_nc_u32_e32 v28, 0x1d4, v34
	v_cmp_gt_u32_e64 s0, 52, v34
	v_and_b32_e32 v62, 0xff, v62
	s_delay_alu instid0(VALU_DEP_3) | instskip(NEXT) | instid1(VALU_DEP_2)
	v_and_b32_e32 v2, 0xffff, v28
	v_lshlrev_b32_e32 v62, 3, v62
	s_delay_alu instid0(VALU_DEP_2) | instskip(SKIP_2) | instid1(VALU_DEP_3)
	v_mul_u32_u24_e32 v50, 0x4ec5, v2
	v_mul_lo_u16 v2, v53, 13
	v_mul_u32_u24_e32 v53, 0xd0, v53
	v_lshrrev_b32_e32 v54, 18, v50
	s_delay_alu instid0(VALU_DEP_3) | instskip(SKIP_1) | instid1(VALU_DEP_3)
	v_sub_nc_u16 v2, v29, v2
	v_lshrrev_b32_e32 v50, 19, v50
	v_mul_lo_u16 v3, v54, 13
	s_delay_alu instid0(VALU_DEP_3) | instskip(NEXT) | instid1(VALU_DEP_3)
	v_and_b32_e32 v2, 0xffff, v2
	v_mul_lo_u16 v65, v50, 26
	v_mul_u32_u24_e32 v54, 0xd0, v54
	s_delay_alu instid0(VALU_DEP_4) | instskip(SKIP_3) | instid1(VALU_DEP_4)
	v_sub_nc_u16 v0, v28, v3
	v_sub_nc_u16 v3, v33, v4
	v_lshlrev_b32_e32 v58, 3, v2
	v_add_nc_u32_e32 v2, 0x1c00, v24
	v_and_b32_e32 v0, 0xffff, v0
	s_delay_alu instid0(VALU_DEP_4) | instskip(NEXT) | instid1(VALU_DEP_4)
	v_and_b32_e32 v1, 0xffff, v3
	v_add3_u32 v53, 0, v53, v58
	s_delay_alu instid0(VALU_DEP_3) | instskip(NEXT) | instid1(VALU_DEP_3)
	v_lshlrev_b32_e32 v59, 3, v0
	v_lshlrev_b32_e32 v60, 3, v1
	s_clause 0x2
	global_load_b64 v[31:32], v58, s[4:5]
	global_load_b64 v[43:44], v59, s[4:5]
	;; [unrolled: 1-line block ×3, first 2 shown]
	v_add_nc_u32_e32 v1, 0x1200, v24
	ds_load_2addr_b64 v[4:7], v24 offset1:156
	v_add_nc_u32_e32 v3, 0x800, v24
	v_add_nc_u32_e32 v0, 0x2400, v24
	v_add3_u32 v55, 0, v55, v60
	ds_load_2addr_b64 v[8:11], v1 offset0:48 offset1:204
	ds_load_2addr_b64 v[12:15], v2 offset0:40 offset1:196
	;; [unrolled: 1-line block ×4, first 2 shown]
	s_waitcnt vmcnt(0) lgkmcnt(0)
	s_barrier
	buffer_gl0_inv
	v_mul_f32_e32 v58, v46, v42
	v_add3_u32 v51, 0, v51, v57
	v_mul_f32_e32 v57, v23, v11
	v_dual_mul_f32 v23, v23, v10 :: v_dual_mul_f32 v46, v46, v41
	s_delay_alu instid0(VALU_DEP_2) | instskip(NEXT) | instid1(VALU_DEP_2)
	v_fma_f32 v10, v22, v10, -v57
	v_fmac_f32_e32 v23, v22, v11
	v_mul_f32_e32 v11, v26, v13
	v_mul_f32_e32 v22, v26, v12
	;; [unrolled: 1-line block ×6, first 2 shown]
	v_and_b32_e32 v47, 0xffff, v47
	v_sub_nc_u16 v63, v30, v63
	v_sub_nc_u16 v64, v29, v64
	;; [unrolled: 1-line block ×3, first 2 shown]
	v_fmac_f32_e32 v44, v43, v40
	v_fma_f32 v12, v25, v12, -v11
	v_fmac_f32_e32 v22, v25, v13
	v_sub_nc_u16 v33, v33, v66
	v_fma_f32 v14, v31, v14, -v26
	v_fmac_f32_e32 v32, v31, v15
	v_fma_f32 v25, v43, v39, -v57
	v_mul_u32_u24_e32 v47, 0xd0, v47
	v_dual_fmac_f32 v46, v45, v42 :: v_dual_and_b32 v63, 0xffff, v63
	v_and_b32_e32 v64, 0xffff, v64
	v_fma_f32 v26, v45, v41, -v58
	v_dual_sub_f32 v10, v4, v10 :: v_dual_sub_f32 v11, v5, v23
	v_dual_sub_f32 v12, v6, v12 :: v_dual_and_b32 v65, 0xffff, v65
	v_sub_f32_e32 v13, v7, v22
	v_dual_sub_f32 v14, v35, v14 :: v_dual_and_b32 v33, 0xffff, v33
	v_dual_sub_f32 v15, v36, v32 :: v_dual_sub_f32 v22, v37, v25
	v_sub_f32_e32 v23, v38, v44
	v_sub_f32_e32 v25, v8, v26
	v_add3_u32 v47, 0, v47, v56
	v_lshlrev_b32_e32 v56, 3, v63
	v_dual_sub_f32 v26, v9, v46 :: v_dual_lshlrev_b32 v63, 3, v64
	v_fma_f32 v4, v4, 2.0, -v10
	v_fma_f32 v5, v5, 2.0, -v11
	;; [unrolled: 1-line block ×6, first 2 shown]
	v_add3_u32 v54, 0, v54, v59
	v_fma_f32 v35, v37, 2.0, -v22
	v_fma_f32 v36, v38, 2.0, -v23
	;; [unrolled: 1-line block ×4, first 2 shown]
	ds_store_2addr_b64 v47, v[4:5], v[10:11] offset1:13
	ds_store_2addr_b64 v51, v[6:7], v[12:13] offset1:13
	;; [unrolled: 1-line block ×5, first 2 shown]
	s_waitcnt lgkmcnt(0)
	s_barrier
	buffer_gl0_inv
	s_clause 0x1
	global_load_b64 v[22:23], v62, s[4:5] offset:104
	global_load_b64 v[25:26], v56, s[4:5] offset:104
	v_lshlrev_b32_e32 v35, 3, v65
	v_lshlrev_b32_e32 v33, 3, v33
	s_clause 0x2
	global_load_b64 v[31:32], v63, s[4:5] offset:104
	global_load_b64 v[43:44], v35, s[4:5] offset:104
	;; [unrolled: 1-line block ×3, first 2 shown]
	ds_load_2addr_b64 v[12:15], v0 offset0:96 offset1:252
	v_mul_lo_u16 v4, v27, 52
	v_mul_u32_u24_e32 v37, 0x1a0, v48
	v_mul_u32_u24_e32 v40, 0x1a0, v50
	;; [unrolled: 1-line block ×4, first 2 shown]
	v_sub_nc_u16 v4, v34, v4
	v_add3_u32 v50, 0, v37, v56
	s_delay_alu instid0(VALU_DEP_4) | instskip(NEXT) | instid1(VALU_DEP_3)
	v_add3_u32 v51, 0, v38, v63
	v_and_b32_e32 v47, 0xff, v4
	ds_load_2addr_b64 v[4:7], v1 offset0:48 offset1:204
	v_mul_u32_u24_e32 v39, 9, v47
	s_waitcnt vmcnt(4) lgkmcnt(0)
	v_mul_f32_e32 v53, v23, v7
	v_mul_f32_e32 v23, v23, v6
	s_delay_alu instid0(VALU_DEP_2) | instskip(SKIP_4) | instid1(VALU_DEP_3)
	v_fma_f32 v6, v22, v6, -v53
	s_waitcnt vmcnt(0)
	v_mul_f32_e32 v57, v46, v15
	v_mul_f32_e32 v46, v46, v14
	v_fmac_f32_e32 v23, v22, v7
	v_fma_f32 v14, v45, v14, -v57
	s_delay_alu instid0(VALU_DEP_3) | instskip(SKIP_2) | instid1(VALU_DEP_4)
	v_fmac_f32_e32 v46, v45, v15
	v_mul_f32_e32 v56, v44, v13
	v_mul_f32_e32 v44, v44, v12
	v_sub_f32_e32 v14, v4, v14
	s_delay_alu instid0(VALU_DEP_4) | instskip(NEXT) | instid1(VALU_DEP_4)
	v_sub_f32_e32 v15, v5, v46
	v_fma_f32 v12, v43, v12, -v56
	s_delay_alu instid0(VALU_DEP_4) | instskip(SKIP_3) | instid1(VALU_DEP_3)
	v_fmac_f32_e32 v44, v43, v13
	v_and_b32_e32 v8, 0xffff, v61
	v_fma_f32 v4, v4, 2.0, -v14
	v_fma_f32 v5, v5, 2.0, -v15
	v_mul_u32_u24_e32 v36, 0x1a0, v8
	ds_load_2addr_b64 v[8:11], v2 offset0:40 offset1:196
	v_lshlrev_b32_e32 v49, 3, v39
	v_add3_u32 v48, 0, v36, v62
	s_waitcnt lgkmcnt(0)
	v_mul_f32_e32 v54, v26, v9
	v_mul_f32_e32 v26, v26, v8
	v_add3_u32 v52, 0, v40, v35
	v_mul_f32_e32 v55, v32, v11
	v_mul_f32_e32 v32, v32, v10
	v_add3_u32 v33, 0, v41, v33
	ds_load_2addr_b64 v[35:38], v24 offset1:156
	ds_load_2addr_b64 v[39:42], v3 offset0:56 offset1:212
	v_fma_f32 v8, v25, v8, -v54
	v_fmac_f32_e32 v26, v25, v9
	v_fma_f32 v10, v31, v10, -v55
	v_fmac_f32_e32 v32, v31, v11
	s_waitcnt lgkmcnt(0)
	s_barrier
	buffer_gl0_inv
	v_dual_sub_f32 v6, v35, v6 :: v_dual_sub_f32 v7, v36, v23
	v_dual_sub_f32 v8, v37, v8 :: v_dual_sub_f32 v9, v38, v26
	;; [unrolled: 1-line block ×3, first 2 shown]
	v_sub_f32_e32 v12, v41, v12
	v_sub_f32_e32 v13, v42, v44
	v_fma_f32 v22, v35, 2.0, -v6
	v_fma_f32 v23, v36, 2.0, -v7
	;; [unrolled: 1-line block ×8, first 2 shown]
	ds_store_2addr_b64 v48, v[22:23], v[6:7] offset1:26
	ds_store_2addr_b64 v50, v[25:26], v[8:9] offset1:26
	;; [unrolled: 1-line block ×5, first 2 shown]
	s_waitcnt lgkmcnt(0)
	s_barrier
	buffer_gl0_inv
	s_clause 0x4
	global_load_b128 v[4:7], v49, s[4:5] offset:312
	global_load_b128 v[8:11], v49, s[4:5] offset:328
	;; [unrolled: 1-line block ×4, first 2 shown]
	global_load_b64 v[22:23], v49, s[4:5] offset:376
	v_and_b32_e32 v25, 0xffff, v27
	ds_load_2addr_b64 v[39:42], v24 offset1:156
	ds_load_2addr_b64 v[43:46], v3 offset0:56 offset1:212
	ds_load_2addr_b64 v[51:54], v2 offset0:40 offset1:196
	v_add_nc_u32_e32 v32, 0x2000, v24
	v_add_nc_u32_e32 v31, 0x900, v24
	v_mul_u32_u24_e32 v3, 0x1040, v25
	v_lshlrev_b32_e32 v25, 3, v47
	ds_load_2addr_b64 v[47:50], v1 offset0:48 offset1:204
	v_add_nc_u32_e32 v33, 0x1400, v24
	v_add3_u32 v27, 0, v3, v25
	ds_load_2addr_b64 v[0:3], v0 offset0:96 offset1:252
	s_waitcnt vmcnt(0) lgkmcnt(0)
	s_barrier
	buffer_gl0_inv
	v_add_nc_u32_e32 v56, 0x800, v27
	v_add_nc_u32_e32 v55, 0x400, v27
	v_mul_f32_e32 v25, v5, v42
	v_mul_f32_e32 v57, v9, v46
	v_dual_mul_f32 v5, v5, v41 :: v_dual_mul_f32 v26, v7, v44
	v_mul_f32_e32 v59, v13, v50
	v_mul_f32_e32 v7, v7, v43
	v_dual_mul_f32 v9, v9, v45 :: v_dual_mul_f32 v58, v11, v48
	v_mul_f32_e32 v11, v11, v47
	v_dual_mul_f32 v13, v13, v49 :: v_dual_mul_f32 v60, v52, v15
	s_delay_alu instid0(VALU_DEP_4)
	v_fmac_f32_e32 v7, v6, v44
	v_mul_f32_e32 v15, v51, v15
	v_mul_f32_e32 v61, v54, v36
	;; [unrolled: 1-line block ×3, first 2 shown]
	v_dual_mul_f32 v62, v1, v38 :: v_dual_mul_f32 v63, v3, v23
	v_dual_mul_f32 v38, v0, v38 :: v_dual_fmac_f32 v11, v10, v48
	v_mul_f32_e32 v23, v2, v23
	v_fma_f32 v25, v4, v41, -v25
	v_dual_fmac_f32 v5, v4, v42 :: v_dual_fmac_f32 v36, v54, v35
	v_fma_f32 v4, v6, v43, -v26
	v_fma_f32 v6, v8, v45, -v57
	v_dual_fmac_f32 v9, v8, v46 :: v_dual_fmac_f32 v38, v1, v37
	v_fma_f32 v8, v10, v47, -v58
	v_fma_f32 v10, v12, v49, -v59
	v_fmac_f32_e32 v13, v12, v50
	v_fma_f32 v12, v51, v14, -v60
	v_fma_f32 v0, v0, v37, -v62
	;; [unrolled: 1-line block ×3, first 2 shown]
	v_dual_add_f32 v2, v39, v4 :: v_dual_fmac_f32 v15, v52, v14
	v_sub_f32_e32 v54, v13, v36
	v_fma_f32 v14, v53, v35, -v61
	v_dual_fmac_f32 v23, v3, v22 :: v_dual_sub_f32 v42, v8, v4
	v_dual_add_f32 v3, v8, v12 :: v_dual_sub_f32 v22, v7, v38
	v_dual_sub_f32 v26, v11, v15 :: v_dual_sub_f32 v35, v4, v8
	v_dual_sub_f32 v37, v0, v12 :: v_dual_sub_f32 v48, v38, v15
	v_dual_add_f32 v41, v4, v0 :: v_dual_sub_f32 v50, v15, v38
	v_dual_sub_f32 v43, v12, v0 :: v_dual_add_f32 v52, v10, v14
	v_dual_add_f32 v44, v40, v7 :: v_dual_add_f32 v49, v7, v38
	v_add_f32_e32 v51, v25, v6
	v_dual_sub_f32 v53, v9, v23 :: v_dual_sub_f32 v60, v10, v6
	v_dual_sub_f32 v57, v6, v10 :: v_dual_add_f32 v62, v5, v9
	v_dual_add_f32 v59, v6, v1 :: v_dual_sub_f32 v66, v23, v36
	v_dual_add_f32 v63, v13, v36 :: v_dual_sub_f32 v64, v10, v14
	v_dual_sub_f32 v6, v6, v1 :: v_dual_add_f32 v67, v9, v23
	v_add_f32_e32 v10, v51, v10
	v_dual_add_f32 v45, v11, v15 :: v_dual_sub_f32 v4, v4, v0
	v_dual_sub_f32 v46, v8, v12 :: v_dual_sub_f32 v47, v7, v11
	v_dual_sub_f32 v7, v11, v7 :: v_dual_sub_f32 v58, v1, v14
	;; [unrolled: 1-line block ×3, first 2 shown]
	v_dual_sub_f32 v65, v9, v13 :: v_dual_add_f32 v2, v2, v8
	v_dual_sub_f32 v9, v13, v9 :: v_dual_add_f32 v8, v42, v43
	v_fma_f32 v69, -0.5, v3, v39
	v_dual_add_f32 v3, v35, v37 :: v_dual_add_f32 v42, v57, v58
	v_fma_f32 v35, -0.5, v41, v39
	v_dual_add_f32 v11, v44, v11 :: v_dual_add_f32 v2, v2, v12
	v_fma_f32 v41, -0.5, v52, v25
	v_add_f32_e32 v13, v62, v13
	v_fma_f32 v44, -0.5, v63, v5
	v_fmac_f32_e32 v5, -0.5, v67
	v_fma_f32 v37, -0.5, v45, v40
	v_fma_f32 v40, -0.5, v49, v40
	v_add_f32_e32 v7, v7, v50
	v_dual_add_f32 v43, v60, v61 :: v_dual_add_f32 v10, v10, v14
	v_add_f32_e32 v45, v65, v66
	v_fmamk_f32 v14, v53, 0x3f737871, v41
	v_dual_add_f32 v13, v13, v36 :: v_dual_fmamk_f32 v36, v6, 0xbf737871, v44
	v_dual_fmac_f32 v44, 0x3f737871, v6 :: v_dual_add_f32 v9, v9, v68
	v_dual_fmamk_f32 v50, v64, 0x3f737871, v5 :: v_dual_add_f32 v39, v47, v48
	v_fmamk_f32 v12, v22, 0x3f737871, v69
	v_fmac_f32_e32 v25, -0.5, v59
	v_dual_fmac_f32 v69, 0xbf737871, v22 :: v_dual_add_f32 v2, v2, v0
	s_delay_alu instid0(VALU_DEP_3) | instskip(SKIP_4) | instid1(VALU_DEP_4)
	v_dual_add_f32 v11, v11, v15 :: v_dual_fmac_f32 v12, 0x3f167918, v26
	v_fmamk_f32 v48, v46, 0x3f737871, v40
	v_fmac_f32_e32 v40, 0xbf737871, v46
	v_fmac_f32_e32 v50, 0xbf167918, v6
	v_fmamk_f32 v15, v4, 0xbf737871, v37
	v_dual_fmac_f32 v69, 0xbf167918, v26 :: v_dual_fmac_f32 v48, 0xbf167918, v4
	s_delay_alu instid0(VALU_DEP_4)
	v_dual_add_f32 v11, v11, v38 :: v_dual_fmac_f32 v40, 0x3f167918, v4
	v_fmac_f32_e32 v14, 0x3f167918, v54
	v_fmamk_f32 v47, v26, 0xbf737871, v35
	v_fmac_f32_e32 v35, 0x3f737871, v26
	v_fmac_f32_e32 v50, 0x3e9e377a, v9
	v_dual_fmac_f32 v37, 0x3f737871, v4 :: v_dual_add_f32 v4, v10, v1
	v_dual_add_f32 v10, v13, v23 :: v_dual_fmac_f32 v41, 0xbf737871, v53
	v_dual_fmac_f32 v47, 0x3f167918, v22 :: v_dual_fmac_f32 v44, 0x3f167918, v64
	v_dual_fmac_f32 v35, 0xbf167918, v22 :: v_dual_fmac_f32 v36, 0xbf167918, v64
	;; [unrolled: 1-line block ×3, first 2 shown]
	s_delay_alu instid0(VALU_DEP_4)
	v_add_f32_e32 v1, v11, v10
	v_mul_f32_e32 v22, 0x3f737871, v50
	v_fmac_f32_e32 v37, 0x3f167918, v46
	v_fmac_f32_e32 v40, 0x3e9e377a, v7
	;; [unrolled: 1-line block ×3, first 2 shown]
	v_add_f32_e32 v0, v2, v4
	v_dual_sub_f32 v2, v2, v4 :: v_dual_fmac_f32 v41, 0xbf167918, v54
	v_fmac_f32_e32 v37, 0x3e9e377a, v39
	v_fmac_f32_e32 v5, 0xbf737871, v64
	v_mul_f32_e32 v13, 0x3f167918, v36
	v_dual_fmac_f32 v12, 0x3e9e377a, v3 :: v_dual_fmac_f32 v47, 0x3e9e377a, v8
	v_fmac_f32_e32 v41, 0x3e9e377a, v42
	s_delay_alu instid0(VALU_DEP_4) | instskip(NEXT) | instid1(VALU_DEP_4)
	v_fmac_f32_e32 v5, 0x3f167918, v6
	v_fmac_f32_e32 v13, 0x3f4f1bbd, v14
	;; [unrolled: 1-line block ×4, first 2 shown]
	v_mul_f32_e32 v6, 0x3f4f1bbd, v41
	v_fmamk_f32 v49, v54, 0xbf737871, v25
	v_dual_fmac_f32 v35, 0x3e9e377a, v8 :: v_dual_fmac_f32 v48, 0x3e9e377a, v7
	v_fmac_f32_e32 v15, 0x3e9e377a, v39
	s_delay_alu instid0(VALU_DEP_4) | instskip(SKIP_3) | instid1(VALU_DEP_4)
	v_fma_f32 v39, 0x3f167918, v44, -v6
	v_fmac_f32_e32 v25, 0x3f737871, v54
	v_sub_f32_e32 v3, v11, v10
	v_fmac_f32_e32 v5, 0x3e9e377a, v9
	v_dual_mul_f32 v23, 0xbf167918, v14 :: v_dual_add_f32 v10, v69, v39
	s_delay_alu instid0(VALU_DEP_4) | instskip(NEXT) | instid1(VALU_DEP_2)
	v_fmac_f32_e32 v25, 0xbf167918, v53
	v_fmac_f32_e32 v23, 0x3f4f1bbd, v36
	s_delay_alu instid0(VALU_DEP_2) | instskip(NEXT) | instid1(VALU_DEP_1)
	v_fmac_f32_e32 v25, 0x3e9e377a, v43
	v_mul_f32_e32 v4, 0x3e9e377a, v25
	s_delay_alu instid0(VALU_DEP_1) | instskip(SKIP_3) | instid1(VALU_DEP_2)
	v_fma_f32 v38, 0x3f737871, v5, -v4
	v_add_f32_e32 v4, v12, v13
	v_fmac_f32_e32 v49, 0x3f167918, v53
	v_dual_sub_f32 v12, v12, v13 :: v_dual_sub_f32 v13, v15, v23
	v_fmac_f32_e32 v49, 0x3e9e377a, v43
	s_delay_alu instid0(VALU_DEP_1) | instskip(NEXT) | instid1(VALU_DEP_1)
	v_mul_f32_e32 v26, 0xbf737871, v49
	v_fmac_f32_e32 v26, 0x3e9e377a, v50
	v_fmac_f32_e32 v22, 0x3e9e377a, v49
	v_mul_f32_e32 v8, 0x3f4f1bbd, v44
	s_delay_alu instid0(VALU_DEP_2) | instskip(SKIP_3) | instid1(VALU_DEP_4)
	v_dual_sub_f32 v14, v47, v22 :: v_dual_mul_f32 v7, 0x3e9e377a, v5
	v_add_f32_e32 v5, v15, v23
	v_add_f32_e32 v6, v47, v22
	v_dual_sub_f32 v15, v48, v26 :: v_dual_sub_f32 v22, v69, v39
	v_fma_f32 v36, 0xbf737871, v25, -v7
	v_add_f32_e32 v7, v48, v26
	v_fma_f32 v41, 0xbf167918, v41, -v8
	v_add_f32_e32 v8, v35, v38
	v_sub_f32_e32 v25, v35, v38
	v_add_f32_e32 v9, v40, v36
	s_delay_alu instid0(VALU_DEP_4)
	v_dual_sub_f32 v26, v40, v36 :: v_dual_add_f32 v11, v37, v41
	v_sub_f32_e32 v23, v37, v41
	ds_store_2addr_b64 v27, v[0:1], v[4:5] offset1:52
	ds_store_2addr_b64 v27, v[6:7], v[8:9] offset0:104 offset1:156
	ds_store_2addr_b64 v55, v[10:11], v[2:3] offset0:80 offset1:132
	;; [unrolled: 1-line block ×4, first 2 shown]
	s_waitcnt lgkmcnt(0)
	s_barrier
	buffer_gl0_inv
	ds_load_2addr_b64 v[4:7], v24 offset1:156
	ds_load_2addr_b64 v[0:3], v31 offset0:24 offset1:232
	ds_load_2addr_b64 v[8:11], v32 offset0:16 offset1:172
	;; [unrolled: 1-line block ×3, first 2 shown]
	ds_load_b64 v[26:27], v24 offset:10816
	s_and_saveexec_b32 s1, s0
	s_cbranch_execz .LBB0_15
; %bb.14:
	ds_load_b64 v[22:23], v24 offset:3744
	ds_load_b64 v[20:21], v24 offset:7904
	;; [unrolled: 1-line block ×3, first 2 shown]
.LBB0_15:
	s_or_b32 exec_lo, exec_lo, s1
	s_and_saveexec_b32 s1, vcc_lo
	s_cbranch_execz .LBB0_18
; %bb.16:
	v_dual_mov_b32 v25, 0 :: v_dual_lshlrev_b32 v24, 1, v29
	v_add_nc_u32_e32 v62, 0x410, v34
	v_mad_u64_u32 v[47:48], null, s8, v30, 0
	v_mul_hi_u32 v33, 0xfc0fc0fd, v29
	s_delay_alu instid0(VALU_DEP_4) | instskip(NEXT) | instid1(VALU_DEP_4)
	v_lshlrev_b64 v[31:32], 3, v[24:25]
	v_mad_u64_u32 v[51:52], null, s8, v62, 0
	v_lshlrev_b32_e32 v24, 1, v30
	v_add_nc_u32_e32 v63, 0x2a4, v34
	v_add_nc_u32_e32 v64, 0x4ac, v34
	v_add_co_u32 v31, vcc_lo, s4, v31
	v_add_co_ci_u32_e32 v32, vcc_lo, s5, v32, vcc_lo
	v_lshlrev_b64 v[39:40], 3, v[24:25]
	v_lshlrev_b32_e32 v24, 1, v34
	v_mad_u64_u32 v[55:56], null, s8, v64, 0
	global_load_b128 v[35:38], v[31:32], off offset:4056
	v_add_co_u32 v31, vcc_lo, s4, v39
	v_add_co_ci_u32_e32 v32, vcc_lo, s5, v40, vcc_lo
	global_load_b128 v[39:42], v[31:32], off offset:4056
	v_lshlrev_b64 v[31:32], 3, v[24:25]
	s_delay_alu instid0(VALU_DEP_1) | instskip(NEXT) | instid1(VALU_DEP_2)
	v_add_co_u32 v31, vcc_lo, s4, v31
	v_add_co_ci_u32_e32 v32, vcc_lo, s5, v32, vcc_lo
	v_add_co_u32 v16, vcc_lo, s10, v16
	v_add_co_ci_u32_e32 v17, vcc_lo, s11, v17, vcc_lo
	global_load_b128 v[43:46], v[31:32], off offset:4056
	v_mad_u64_u32 v[31:32], null, s8, v34, 0
	s_delay_alu instid0(VALU_DEP_1) | instskip(NEXT) | instid1(VALU_DEP_1)
	v_dual_mov_b32 v24, v32 :: v_dual_add_nc_u32 v61, 0x208, v34
	v_mad_u64_u32 v[49:50], null, s8, v61, 0
	v_mov_b32_e32 v32, v48
	v_mad_u64_u32 v[53:54], null, s8, v63, 0
	v_lshrrev_b32_e32 v48, 9, v33
	v_mov_b32_e32 v33, v52
	v_mad_u64_u32 v[57:58], null, s9, v34, v[24:25]
	s_delay_alu instid0(VALU_DEP_3) | instskip(SKIP_1) | instid1(VALU_DEP_4)
	v_mad_u32_u24 v66, 0x410, v48, v29
	v_mov_b32_e32 v24, v50
	v_mad_u64_u32 v[58:59], null, s9, v30, v[32:33]
	v_mov_b32_e32 v30, v54
	s_delay_alu instid0(VALU_DEP_4) | instskip(NEXT) | instid1(VALU_DEP_4)
	v_dual_mov_b32 v32, v56 :: v_dual_add_nc_u32 v67, 0x208, v66
	v_mad_u64_u32 v[59:60], null, s9, v61, v[24:25]
	v_mad_u64_u32 v[60:61], null, s9, v62, v[33:34]
	s_delay_alu instid0(VALU_DEP_4) | instskip(NEXT) | instid1(VALU_DEP_4)
	v_mad_u64_u32 v[61:62], null, s9, v63, v[30:31]
	v_mad_u64_u32 v[29:30], null, s9, v64, v[32:33]
	;; [unrolled: 1-line block ×3, first 2 shown]
	v_add_nc_u32_e32 v68, 0x410, v66
	v_mov_b32_e32 v32, v57
	v_mov_b32_e32 v48, v58
	v_mad_u64_u32 v[57:58], null, s8, v67, 0
	s_delay_alu instid0(VALU_DEP_4) | instskip(NEXT) | instid1(VALU_DEP_4)
	v_mad_u64_u32 v[64:65], null, s8, v68, 0
	v_lshlrev_b64 v[30:31], 3, v[31:32]
	v_mov_b32_e32 v50, v59
	v_mov_b32_e32 v52, v60
	;; [unrolled: 1-line block ×5, first 2 shown]
	v_lshlrev_b64 v[32:33], 3, v[47:48]
	v_lshlrev_b64 v[47:48], 3, v[49:50]
	;; [unrolled: 1-line block ×5, first 2 shown]
	v_mad_u64_u32 v[55:56], null, s9, v66, v[24:25]
	v_dual_mov_b32 v24, v58 :: v_dual_mov_b32 v29, v65
	v_add_co_u32 v30, vcc_lo, v16, v30
	v_add_co_ci_u32_e32 v31, vcc_lo, v17, v31, vcc_lo
	s_delay_alu instid0(VALU_DEP_3) | instskip(NEXT) | instid1(VALU_DEP_3)
	v_mad_u64_u32 v[58:59], null, s9, v67, v[24:25]
	v_mad_u64_u32 v[59:60], null, s9, v68, v[29:30]
	v_add_co_u32 v32, vcc_lo, v16, v32
	v_add_co_ci_u32_e32 v33, vcc_lo, v17, v33, vcc_lo
	v_add_co_u32 v47, vcc_lo, v16, v47
	v_mov_b32_e32 v63, v55
	v_add_co_ci_u32_e32 v48, vcc_lo, v17, v48, vcc_lo
	v_add_co_u32 v49, vcc_lo, v16, v49
	v_add_co_ci_u32_e32 v50, vcc_lo, v17, v50, vcc_lo
	v_add_co_u32 v51, vcc_lo, v16, v51
	v_lshlrev_b64 v[55:56], 3, v[62:63]
	v_mov_b32_e32 v65, v59
	v_add_co_ci_u32_e32 v52, vcc_lo, v17, v52, vcc_lo
	v_add_co_u32 v53, vcc_lo, v16, v53
	v_lshlrev_b64 v[57:58], 3, v[57:58]
	v_add_co_ci_u32_e32 v54, vcc_lo, v17, v54, vcc_lo
	v_lshlrev_b64 v[59:60], 3, v[64:65]
	v_add_co_u32 v55, vcc_lo, v16, v55
	v_add_co_ci_u32_e32 v56, vcc_lo, v17, v56, vcc_lo
	v_add_co_u32 v57, vcc_lo, v16, v57
	v_add_co_ci_u32_e32 v58, vcc_lo, v17, v58, vcc_lo
	;; [unrolled: 2-line block ×3, first 2 shown]
	s_waitcnt vmcnt(2) lgkmcnt(1)
	v_mul_f32_e32 v29, v35, v15
	s_waitcnt lgkmcnt(0)
	v_mul_f32_e32 v24, v37, v27
	v_mul_f32_e32 v15, v36, v15
	;; [unrolled: 1-line block ×3, first 2 shown]
	v_fmac_f32_e32 v29, v36, v14
	s_delay_alu instid0(VALU_DEP_3) | instskip(NEXT) | instid1(VALU_DEP_3)
	v_fma_f32 v14, v35, v14, -v15
	v_fma_f32 v15, v37, v26, -v27
	s_waitcnt vmcnt(1)
	v_mul_f32_e32 v35, v40, v12
	v_dual_add_f32 v37, v1, v29 :: v_dual_mul_f32 v36, v42, v10
	v_mul_f32_e32 v27, v42, v11
	s_delay_alu instid0(VALU_DEP_2) | instskip(SKIP_2) | instid1(VALU_DEP_2)
	v_dual_fmac_f32 v35, v39, v13 :: v_dual_fmac_f32 v36, v41, v11
	v_fmac_f32_e32 v24, v38, v26
	v_add_f32_e32 v38, v0, v14
	v_add_f32_e32 v11, v24, v37
	s_delay_alu instid0(VALU_DEP_4) | instskip(SKIP_3) | instid1(VALU_DEP_3)
	v_dual_sub_f32 v37, v35, v36 :: v_dual_mul_f32 v26, v40, v13
	v_dual_add_f32 v42, v24, v29 :: v_dual_sub_f32 v29, v29, v24
	s_waitcnt vmcnt(0)
	v_mul_f32_e32 v13, v44, v3
	v_fma_f32 v12, v39, v12, -v26
	v_fma_f32 v26, v41, v10, -v27
	v_dual_sub_f32 v40, v14, v15 :: v_dual_mul_f32 v39, v44, v2
	v_dual_mul_f32 v41, v46, v8 :: v_dual_add_f32 v14, v15, v14
	v_mul_f32_e32 v27, v46, v9
	v_fma_f32 v13, v43, v2, -v13
	s_delay_alu instid0(VALU_DEP_4) | instskip(NEXT) | instid1(VALU_DEP_4)
	v_fmac_f32_e32 v39, v43, v3
	v_fmac_f32_e32 v41, v45, v9
	v_fma_f32 v1, -0.5, v42, v1
	v_fmac_f32_e32 v0, -0.5, v14
	v_add_f32_e32 v14, v35, v36
	v_add_f32_e32 v35, v7, v35
	;; [unrolled: 1-line block ×4, first 2 shown]
	v_fma_f32 v27, v45, v8, -v27
	v_sub_f32_e32 v24, v12, v26
	v_dual_add_f32 v12, v6, v12 :: v_dual_fmamk_f32 v3, v40, 0x3f5db3d7, v1
	v_add_f32_e32 v9, v35, v36
	v_add_f32_e32 v35, v4, v13
	v_fma_f32 v7, -0.5, v14, v7
	v_fmamk_f32 v2, v29, 0xbf5db3d7, v0
	v_fmac_f32_e32 v0, 0x3f5db3d7, v29
	v_fma_f32 v6, -0.5, v15, v6
	v_add_f32_e32 v15, v13, v27
	v_dual_sub_f32 v29, v39, v41 :: v_dual_add_f32 v8, v12, v26
	v_dual_sub_f32 v12, v13, v27 :: v_dual_fmamk_f32 v13, v24, 0x3f5db3d7, v7
	v_dual_fmac_f32 v7, 0xbf5db3d7, v24 :: v_dual_add_f32 v14, v39, v41
	v_add_f32_e32 v26, v5, v39
	v_fma_f32 v4, -0.5, v15, v4
	v_fmac_f32_e32 v1, 0xbf5db3d7, v40
	s_delay_alu instid0(VALU_DEP_4) | instskip(NEXT) | instid1(VALU_DEP_4)
	v_fma_f32 v5, -0.5, v14, v5
	v_dual_add_f32 v15, v26, v41 :: v_dual_add_f32 v14, v35, v27
	s_delay_alu instid0(VALU_DEP_4) | instskip(NEXT) | instid1(VALU_DEP_3)
	v_fmamk_f32 v26, v29, 0xbf5db3d7, v4
	v_dual_fmac_f32 v4, 0x3f5db3d7, v29 :: v_dual_fmamk_f32 v27, v12, 0x3f5db3d7, v5
	v_dual_fmac_f32 v5, 0xbf5db3d7, v12 :: v_dual_fmamk_f32 v12, v37, 0xbf5db3d7, v6
	v_fmac_f32_e32 v6, 0x3f5db3d7, v37
	s_clause 0x8
	global_store_b64 v[30:31], v[14:15], off
	global_store_b64 v[47:48], v[4:5], off
	;; [unrolled: 1-line block ×9, first 2 shown]
	s_and_b32 exec_lo, exec_lo, s0
	s_cbranch_execz .LBB0_18
; %bb.17:
	v_add_nc_u32_e32 v13, 0x3dc, v34
	v_mad_u64_u32 v[4:5], null, s8, v28, 0
	v_subrev_nc_u32_e32 v0, 52, v34
	v_add_nc_u32_e32 v14, 0x5e4, v34
	s_delay_alu instid0(VALU_DEP_4) | instskip(NEXT) | instid1(VALU_DEP_3)
	v_mad_u64_u32 v[6:7], null, s8, v13, 0
	v_cndmask_b32_e64 v0, v0, v28, s0
	s_delay_alu instid0(VALU_DEP_3) | instskip(NEXT) | instid1(VALU_DEP_3)
	v_mad_u64_u32 v[8:9], null, s8, v14, 0
	v_mad_u64_u32 v[10:11], null, s9, v28, v[5:6]
	s_delay_alu instid0(VALU_DEP_3) | instskip(NEXT) | instid1(VALU_DEP_3)
	v_lshlrev_b32_e32 v24, 1, v0
	v_mad_u64_u32 v[11:12], null, s9, v13, v[7:8]
	s_delay_alu instid0(VALU_DEP_3) | instskip(NEXT) | instid1(VALU_DEP_3)
	v_mov_b32_e32 v5, v10
	v_lshlrev_b64 v[0:1], 3, v[24:25]
	s_delay_alu instid0(VALU_DEP_3) | instskip(SKIP_1) | instid1(VALU_DEP_3)
	v_mov_b32_e32 v7, v11
	v_mad_u64_u32 v[12:13], null, s9, v14, v[9:10]
	v_add_co_u32 v0, vcc_lo, s4, v0
	s_delay_alu instid0(VALU_DEP_4)
	v_add_co_ci_u32_e32 v1, vcc_lo, s5, v1, vcc_lo
	v_lshlrev_b64 v[4:5], 3, v[4:5]
	v_lshlrev_b64 v[6:7], 3, v[6:7]
	global_load_b128 v[0:3], v[0:1], off offset:4056
	v_add_co_u32 v4, vcc_lo, v16, v4
	v_add_co_ci_u32_e32 v5, vcc_lo, v17, v5, vcc_lo
	v_add_co_u32 v6, vcc_lo, v16, v6
	v_add_co_ci_u32_e32 v7, vcc_lo, v17, v7, vcc_lo
	s_waitcnt vmcnt(0)
	v_mul_f32_e32 v10, v21, v1
	s_delay_alu instid0(VALU_DEP_1) | instskip(SKIP_3) | instid1(VALU_DEP_3)
	v_fma_f32 v10, v20, v0, -v10
	v_mul_f32_e32 v11, v20, v1
	v_mul_f32_e32 v1, v19, v3
	v_mov_b32_e32 v9, v12
	v_fmac_f32_e32 v11, v21, v0
	s_delay_alu instid0(VALU_DEP_3) | instskip(SKIP_1) | instid1(VALU_DEP_1)
	v_fma_f32 v12, v18, v2, -v1
	v_mul_f32_e32 v3, v18, v3
	v_dual_fmac_f32 v3, v19, v2 :: v_dual_add_f32 v2, v10, v12
	v_lshlrev_b64 v[8:9], 3, v[8:9]
	s_delay_alu instid0(VALU_DEP_1) | instskip(SKIP_1) | instid1(VALU_DEP_4)
	v_add_co_u32 v0, vcc_lo, v16, v8
	v_add_f32_e32 v8, v22, v10
	v_dual_sub_f32 v10, v10, v12 :: v_dual_sub_f32 v13, v11, v3
	v_fmac_f32_e32 v22, -0.5, v2
	v_add_co_ci_u32_e32 v1, vcc_lo, v17, v9, vcc_lo
	s_delay_alu instid0(VALU_DEP_4) | instskip(NEXT) | instid1(VALU_DEP_3)
	v_add_f32_e32 v2, v8, v12
	v_fmamk_f32 v8, v13, 0x3f5db3d7, v22
	v_dual_fmac_f32 v22, 0xbf5db3d7, v13 :: v_dual_add_f32 v9, v11, v3
	v_add_f32_e32 v11, v23, v11
	s_delay_alu instid0(VALU_DEP_2) | instskip(NEXT) | instid1(VALU_DEP_2)
	v_fmac_f32_e32 v23, -0.5, v9
	v_add_f32_e32 v3, v11, v3
	s_delay_alu instid0(VALU_DEP_2)
	v_fmamk_f32 v9, v10, 0xbf5db3d7, v23
	v_fmac_f32_e32 v23, 0x3f5db3d7, v10
	s_clause 0x2
	global_store_b64 v[4:5], v[2:3], off
	global_store_b64 v[6:7], v[8:9], off
	;; [unrolled: 1-line block ×3, first 2 shown]
.LBB0_18:
	s_nop 0
	s_sendmsg sendmsg(MSG_DEALLOC_VGPRS)
	s_endpgm
	.section	.rodata,"a",@progbits
	.p2align	6, 0x0
	.amdhsa_kernel fft_rtc_fwd_len1560_factors_13_2_2_10_3_wgs_156_tpt_156_sp_ip_CI_sbrr_dirReg
		.amdhsa_group_segment_fixed_size 0
		.amdhsa_private_segment_fixed_size 0
		.amdhsa_kernarg_size 88
		.amdhsa_user_sgpr_count 15
		.amdhsa_user_sgpr_dispatch_ptr 0
		.amdhsa_user_sgpr_queue_ptr 0
		.amdhsa_user_sgpr_kernarg_segment_ptr 1
		.amdhsa_user_sgpr_dispatch_id 0
		.amdhsa_user_sgpr_private_segment_size 0
		.amdhsa_wavefront_size32 1
		.amdhsa_uses_dynamic_stack 0
		.amdhsa_enable_private_segment 0
		.amdhsa_system_sgpr_workgroup_id_x 1
		.amdhsa_system_sgpr_workgroup_id_y 0
		.amdhsa_system_sgpr_workgroup_id_z 0
		.amdhsa_system_sgpr_workgroup_info 0
		.amdhsa_system_vgpr_workitem_id 0
		.amdhsa_next_free_vgpr 123
		.amdhsa_next_free_sgpr 23
		.amdhsa_reserve_vcc 1
		.amdhsa_float_round_mode_32 0
		.amdhsa_float_round_mode_16_64 0
		.amdhsa_float_denorm_mode_32 3
		.amdhsa_float_denorm_mode_16_64 3
		.amdhsa_dx10_clamp 1
		.amdhsa_ieee_mode 1
		.amdhsa_fp16_overflow 0
		.amdhsa_workgroup_processor_mode 1
		.amdhsa_memory_ordered 1
		.amdhsa_forward_progress 0
		.amdhsa_shared_vgpr_count 0
		.amdhsa_exception_fp_ieee_invalid_op 0
		.amdhsa_exception_fp_denorm_src 0
		.amdhsa_exception_fp_ieee_div_zero 0
		.amdhsa_exception_fp_ieee_overflow 0
		.amdhsa_exception_fp_ieee_underflow 0
		.amdhsa_exception_fp_ieee_inexact 0
		.amdhsa_exception_int_div_zero 0
	.end_amdhsa_kernel
	.text
.Lfunc_end0:
	.size	fft_rtc_fwd_len1560_factors_13_2_2_10_3_wgs_156_tpt_156_sp_ip_CI_sbrr_dirReg, .Lfunc_end0-fft_rtc_fwd_len1560_factors_13_2_2_10_3_wgs_156_tpt_156_sp_ip_CI_sbrr_dirReg
                                        ; -- End function
	.section	.AMDGPU.csdata,"",@progbits
; Kernel info:
; codeLenInByte = 9868
; NumSgprs: 25
; NumVgprs: 123
; ScratchSize: 0
; MemoryBound: 0
; FloatMode: 240
; IeeeMode: 1
; LDSByteSize: 0 bytes/workgroup (compile time only)
; SGPRBlocks: 3
; VGPRBlocks: 15
; NumSGPRsForWavesPerEU: 25
; NumVGPRsForWavesPerEU: 123
; Occupancy: 10
; WaveLimiterHint : 1
; COMPUTE_PGM_RSRC2:SCRATCH_EN: 0
; COMPUTE_PGM_RSRC2:USER_SGPR: 15
; COMPUTE_PGM_RSRC2:TRAP_HANDLER: 0
; COMPUTE_PGM_RSRC2:TGID_X_EN: 1
; COMPUTE_PGM_RSRC2:TGID_Y_EN: 0
; COMPUTE_PGM_RSRC2:TGID_Z_EN: 0
; COMPUTE_PGM_RSRC2:TIDIG_COMP_CNT: 0
	.text
	.p2alignl 7, 3214868480
	.fill 96, 4, 3214868480
	.type	__hip_cuid_6fde14dcac02c0bf,@object ; @__hip_cuid_6fde14dcac02c0bf
	.section	.bss,"aw",@nobits
	.globl	__hip_cuid_6fde14dcac02c0bf
__hip_cuid_6fde14dcac02c0bf:
	.byte	0                               ; 0x0
	.size	__hip_cuid_6fde14dcac02c0bf, 1

	.ident	"AMD clang version 19.0.0git (https://github.com/RadeonOpenCompute/llvm-project roc-6.4.0 25133 c7fe45cf4b819c5991fe208aaa96edf142730f1d)"
	.section	".note.GNU-stack","",@progbits
	.addrsig
	.addrsig_sym __hip_cuid_6fde14dcac02c0bf
	.amdgpu_metadata
---
amdhsa.kernels:
  - .args:
      - .actual_access:  read_only
        .address_space:  global
        .offset:         0
        .size:           8
        .value_kind:     global_buffer
      - .offset:         8
        .size:           8
        .value_kind:     by_value
      - .actual_access:  read_only
        .address_space:  global
        .offset:         16
        .size:           8
        .value_kind:     global_buffer
      - .actual_access:  read_only
        .address_space:  global
        .offset:         24
        .size:           8
        .value_kind:     global_buffer
      - .offset:         32
        .size:           8
        .value_kind:     by_value
      - .actual_access:  read_only
        .address_space:  global
        .offset:         40
        .size:           8
        .value_kind:     global_buffer
      - .actual_access:  read_only
        .address_space:  global
        .offset:         48
        .size:           8
        .value_kind:     global_buffer
      - .offset:         56
        .size:           4
        .value_kind:     by_value
      - .actual_access:  read_only
        .address_space:  global
        .offset:         64
        .size:           8
        .value_kind:     global_buffer
      - .actual_access:  read_only
        .address_space:  global
        .offset:         72
        .size:           8
        .value_kind:     global_buffer
      - .address_space:  global
        .offset:         80
        .size:           8
        .value_kind:     global_buffer
    .group_segment_fixed_size: 0
    .kernarg_segment_align: 8
    .kernarg_segment_size: 88
    .language:       OpenCL C
    .language_version:
      - 2
      - 0
    .max_flat_workgroup_size: 156
    .name:           fft_rtc_fwd_len1560_factors_13_2_2_10_3_wgs_156_tpt_156_sp_ip_CI_sbrr_dirReg
    .private_segment_fixed_size: 0
    .sgpr_count:     25
    .sgpr_spill_count: 0
    .symbol:         fft_rtc_fwd_len1560_factors_13_2_2_10_3_wgs_156_tpt_156_sp_ip_CI_sbrr_dirReg.kd
    .uniform_work_group_size: 1
    .uses_dynamic_stack: false
    .vgpr_count:     123
    .vgpr_spill_count: 0
    .wavefront_size: 32
    .workgroup_processor_mode: 1
amdhsa.target:   amdgcn-amd-amdhsa--gfx1100
amdhsa.version:
  - 1
  - 2
...

	.end_amdgpu_metadata
